;; amdgpu-corpus repo=ROCm/rocFFT kind=compiled arch=gfx950 opt=O3
	.text
	.amdgcn_target "amdgcn-amd-amdhsa--gfx950"
	.amdhsa_code_object_version 6
	.protected	bluestein_single_fwd_len325_dim1_sp_op_CI_CI ; -- Begin function bluestein_single_fwd_len325_dim1_sp_op_CI_CI
	.globl	bluestein_single_fwd_len325_dim1_sp_op_CI_CI
	.p2align	8
	.type	bluestein_single_fwd_len325_dim1_sp_op_CI_CI,@function
bluestein_single_fwd_len325_dim1_sp_op_CI_CI: ; @bluestein_single_fwd_len325_dim1_sp_op_CI_CI
; %bb.0:
	s_load_dwordx4 s[12:15], s[0:1], 0x28
	v_mul_u32_u24_e32 v1, 0x13b2, v0
	v_lshrrev_b32_e32 v4, 16, v1
	v_mov_b32_e32 v249, 0
	v_lshl_add_u32 v8, s2, 2, v4
	v_mov_b32_e32 v9, v249
	s_waitcnt lgkmcnt(0)
	v_cmp_gt_u64_e32 vcc, s[12:13], v[8:9]
	s_and_saveexec_b64 s[2:3], vcc
	s_cbranch_execz .LBB0_15
; %bb.1:
	s_load_dwordx4 s[4:7], s[0:1], 0x18
	s_load_dwordx2 s[12:13], s[0:1], 0x0
	v_mul_lo_u16_e32 v1, 13, v4
	v_sub_u16_e32 v248, v0, v1
	v_accvgpr_write_b32 a20, v8
	s_waitcnt lgkmcnt(0)
	s_load_dwordx4 s[8:11], s[4:5], 0x0
	v_mov_b32_e32 v2, s14
	v_mov_b32_e32 v3, s15
	v_and_b32_e32 v4, 3, v4
	v_mul_u32_u24_e32 v4, 0x145, v4
	s_waitcnt lgkmcnt(0)
	v_mad_u64_u32 v[0:1], s[2:3], s10, v8, 0
	v_mov_b32_e32 v6, v1
	v_mad_u64_u32 v[6:7], s[2:3], s11, v8, v[6:7]
	v_mov_b32_e32 v1, v6
	;; [unrolled: 2-line block ×3, first 2 shown]
	v_mad_u64_u32 v[8:9], s[2:3], s9, v248, v[8:9]
	s_mul_i32 s2, s9, 25
	s_mul_hi_u32 s3, s8, 25
	v_mov_b32_e32 v7, v8
	v_lshl_add_u64 v[0:1], v[0:1], 3, v[2:3]
	s_add_i32 s3, s3, s2
	s_mul_i32 s2, s8, 25
	v_lshl_add_u64 v[2:3], v[6:7], 3, v[0:1]
	s_lshl_b64 s[10:11], s[2:3], 3
	v_lshlrev_b32_e32 v6, 3, v248
	global_load_dwordx2 v[8:9], v[2:3], off
	v_lshl_add_u64 v[2:3], v[2:3], 0, s[10:11]
	global_load_dwordx2 v[58:59], v6, s[12:13]
	global_load_dwordx2 v[10:11], v[2:3], off
	global_load_dwordx2 v[56:57], v6, s[12:13] offset:200
	v_lshl_add_u64 v[2:3], v[2:3], 0, s[10:11]
	global_load_dwordx2 v[54:55], v6, s[12:13] offset:400
	global_load_dwordx2 v[12:13], v[2:3], off
	v_lshl_add_u64 v[2:3], v[2:3], 0, s[10:11]
	global_load_dwordx2 v[14:15], v[2:3], off
	global_load_dwordx2 v[52:53], v6, s[12:13] offset:600
	v_lshl_add_u64 v[2:3], v[2:3], 0, s[10:11]
	global_load_dwordx2 v[16:17], v[2:3], off
	global_load_dwordx2 v[50:51], v6, s[12:13] offset:800
	;; [unrolled: 3-line block ×4, first 2 shown]
	v_lshl_add_u64 v[2:3], v[2:3], 0, s[10:11]
	global_load_dwordx2 v[44:45], v6, s[12:13] offset:1400
	global_load_dwordx2 v[22:23], v[2:3], off
	v_lshl_add_u64 v[2:3], v[2:3], 0, s[10:11]
	global_load_dwordx2 v[24:25], v[2:3], off
	global_load_dwordx2 v[42:43], v6, s[12:13] offset:1600
	v_lshl_add_u64 v[2:3], v[2:3], 0, s[10:11]
	global_load_dwordx2 v[26:27], v[2:3], off
	global_load_dwordx2 v[40:41], v6, s[12:13] offset:1800
	;; [unrolled: 3-line block ×3, first 2 shown]
	global_load_dwordx2 v[36:37], v6, s[12:13] offset:2200
	v_lshl_add_u64 v[2:3], v[2:3], 0, s[10:11]
	global_load_dwordx2 v[30:31], v[2:3], off
	global_load_dwordx2 v[34:35], v6, s[12:13] offset:2400
	v_lshl_add_u64 v[2:3], v[2:3], 0, s[10:11]
	global_load_dwordx2 v[32:33], v[2:3], off
	v_mov_b32_e32 v7, v249
	v_lshlrev_b32_e32 v221, 3, v4
	v_lshl_add_u64 v[4:5], s[12:13], 0, v[6:7]
	v_accvgpr_write_b32 a0, v4
	v_add_u32_e32 v220, v221, v6
	v_accvgpr_write_b32 a1, v5
	s_load_dwordx2 s[2:3], s[0:1], 0x38
	v_cmp_gt_u16_e32 vcc, 12, v248
	s_load_dwordx4 s[4:7], s[6:7], 0x0
	s_waitcnt vmcnt(24)
	v_mul_f32_e32 v4, v9, v59
	v_mul_f32_e32 v5, v8, v59
	s_waitcnt vmcnt(22)
	v_mul_f32_e32 v6, v11, v57
	v_mul_f32_e32 v7, v10, v57
	v_fmac_f32_e32 v4, v8, v58
	v_fma_f32 v5, v9, v58, -v5
	v_fmac_f32_e32 v6, v10, v56
	v_fma_f32 v7, v11, v56, -v7
	s_waitcnt vmcnt(20)
	v_mul_f32_e32 v8, v13, v55
	v_mul_f32_e32 v9, v12, v55
	ds_write2_b64 v220, v[4:5], v[6:7] offset1:25
	s_waitcnt vmcnt(18)
	v_mul_f32_e32 v4, v15, v53
	v_mul_f32_e32 v5, v14, v53
	v_fmac_f32_e32 v8, v12, v54
	v_fma_f32 v9, v13, v54, -v9
	v_fmac_f32_e32 v4, v14, v52
	v_fma_f32 v5, v15, v52, -v5
	s_waitcnt vmcnt(16)
	v_mul_f32_e32 v6, v17, v51
	v_mul_f32_e32 v7, v16, v51
	ds_write2_b64 v220, v[8:9], v[4:5] offset0:50 offset1:75
	s_waitcnt vmcnt(14)
	v_mul_f32_e32 v4, v19, v49
	v_mul_f32_e32 v5, v18, v49
	v_fmac_f32_e32 v6, v16, v50
	v_fma_f32 v7, v17, v50, -v7
	v_fmac_f32_e32 v4, v18, v48
	v_fma_f32 v5, v19, v48, -v5
	s_waitcnt vmcnt(12)
	v_mul_f32_e32 v8, v21, v47
	v_mul_f32_e32 v9, v20, v47
	ds_write2_b64 v220, v[6:7], v[4:5] offset0:100 offset1:125
	s_waitcnt vmcnt(10)
	v_mul_f32_e32 v4, v23, v45
	v_mul_f32_e32 v5, v22, v45
	v_fmac_f32_e32 v8, v20, v46
	v_fma_f32 v9, v21, v46, -v9
	v_fmac_f32_e32 v4, v22, v44
	v_fma_f32 v5, v23, v44, -v5
	ds_write2_b64 v220, v[8:9], v[4:5] offset0:150 offset1:175
	s_waitcnt vmcnt(8)
	v_mul_f32_e32 v4, v25, v43
	v_mul_f32_e32 v5, v24, v43
	s_waitcnt vmcnt(6)
	v_mul_f32_e32 v6, v27, v41
	v_mul_f32_e32 v7, v26, v41
	v_fmac_f32_e32 v4, v24, v42
	v_fma_f32 v5, v25, v42, -v5
	v_fmac_f32_e32 v6, v26, v40
	v_fma_f32 v7, v27, v40, -v7
	ds_write2_b64 v220, v[4:5], v[6:7] offset0:200 offset1:225
	s_waitcnt vmcnt(4)
	v_mul_f32_e32 v4, v28, v39
	v_mul_f32_e32 v6, v29, v39
	v_fma_f32 v7, v29, v38, -v4
	s_waitcnt vmcnt(2)
	v_mul_f32_e32 v8, v31, v37
	v_mul_f32_e32 v4, v30, v37
	v_fmac_f32_e32 v6, v28, v38
	v_fmac_f32_e32 v8, v30, v36
	v_fma_f32 v9, v31, v36, -v4
	v_add_u32_e32 v4, 0x400, v220
	v_accvgpr_write_b32 a28, v58
	v_accvgpr_write_b32 a26, v56
	;; [unrolled: 1-line block ×12, first 2 shown]
	ds_write2_b64 v4, v[6:7], v[8:9] offset0:122 offset1:147
	s_waitcnt vmcnt(0)
	v_mul_f32_e32 v6, v33, v35
	v_mul_f32_e32 v5, v32, v35
	v_accvgpr_write_b32 a2, v34
	v_accvgpr_write_b32 a29, v59
	;; [unrolled: 1-line block ×13, first 2 shown]
	v_fmac_f32_e32 v6, v32, v34
	v_accvgpr_write_b32 a3, v35
	v_fma_f32 v7, v33, v34, -v5
	ds_write_b64 v220, v[6:7] offset:2400
	s_and_saveexec_b64 s[14:15], vcc
	s_cbranch_execz .LBB0_3
; %bb.2:
	v_mov_b32_e32 v5, 0xfffff708
	v_mad_u64_u32 v[2:3], s[16:17], s8, v5, v[2:3]
	s_mul_i32 s16, s9, 0xfffff708
	s_sub_i32 s16, s16, s8
	v_add_u32_e32 v3, s16, v3
	v_accvgpr_read_b32 v59, a1
	global_load_dwordx2 v[6:7], v[2:3], off
	v_accvgpr_read_b32 v58, a0
	v_lshl_add_u64 v[2:3], v[2:3], 0, s[10:11]
	global_load_dwordx2 v[8:9], v[58:59], off offset:104
	global_load_dwordx2 v[10:11], v[2:3], off
	global_load_dwordx2 v[12:13], v[58:59], off offset:304
	v_lshl_add_u64 v[2:3], v[2:3], 0, s[10:11]
	global_load_dwordx2 v[14:15], v[2:3], off
	global_load_dwordx2 v[16:17], v[58:59], off offset:504
	global_load_dwordx2 v[18:19], v[58:59], off offset:704
	v_lshl_add_u64 v[2:3], v[2:3], 0, s[10:11]
	global_load_dwordx2 v[20:21], v[2:3], off
	v_lshl_add_u64 v[2:3], v[2:3], 0, s[10:11]
	global_load_dwordx2 v[22:23], v[2:3], off
	global_load_dwordx2 v[24:25], v[58:59], off offset:904
	v_lshl_add_u64 v[2:3], v[2:3], 0, s[10:11]
	global_load_dwordx2 v[26:27], v[2:3], off
	global_load_dwordx2 v[28:29], v[58:59], off offset:1104
	;; [unrolled: 3-line block ×3, first 2 shown]
	global_load_dwordx2 v[34:35], v[58:59], off offset:1504
	v_or_b32_e32 v5, 0x120, v248
	v_lshl_add_u64 v[2:3], v[2:3], 0, s[10:11]
	global_load_dwordx2 v[36:37], v[2:3], off
	v_lshl_add_u64 v[2:3], v[2:3], 0, s[10:11]
	v_mad_u64_u32 v[50:51], s[16:17], s8, v5, 0
	global_load_dwordx2 v[38:39], v[2:3], off
	global_load_dwordx2 v[40:41], v[58:59], off offset:1704
	global_load_dwordx2 v[42:43], v[58:59], off offset:1904
	;; [unrolled: 1-line block ×4, first 2 shown]
	v_lshl_add_u64 v[2:3], v[2:3], 0, s[10:11]
	v_mov_b32_e32 v52, v51
	global_load_dwordx2 v[48:49], v[2:3], off
	v_lshl_add_u64 v[2:3], v[2:3], 0, s[10:11]
	v_mad_u64_u32 v[52:53], s[10:11], s9, v5, v[52:53]
	v_mov_b32_e32 v51, v52
	v_lshl_add_u64 v[0:1], v[50:51], 3, v[0:1]
	v_mov_b32_e32 v56, 0x190
	global_load_dwordx2 v[0:1], v[0:1], off
	s_mul_i32 s10, s9, 0x190
	global_load_dwordx2 v[54:55], v[2:3], off
	v_mad_u64_u32 v[2:3], s[8:9], s8, v56, v[2:3]
	v_add_u32_e32 v3, s10, v3
	global_load_dwordx2 v[50:51], v[58:59], off offset:2504
	s_waitcnt vmcnt(23)
	v_mul_f32_e32 v52, v7, v9
	global_load_dwordx2 v[2:3], v[2:3], off
	v_mul_f32_e32 v5, v6, v9
	v_fmac_f32_e32 v52, v6, v8
	v_fma_f32 v53, v7, v8, -v5
	s_waitcnt vmcnt(22)
	v_mul_f32_e32 v6, v11, v13
	v_mul_f32_e32 v5, v10, v13
	v_fmac_f32_e32 v6, v10, v12
	v_fma_f32 v7, v11, v12, -v5
	s_waitcnt vmcnt(20)
	v_mul_f32_e32 v5, v14, v17
	v_mul_f32_e32 v8, v15, v17
	ds_write2_b64 v220, v[52:53], v[6:7] offset0:13 offset1:38
	v_fma_f32 v9, v15, v16, -v5
	s_waitcnt vmcnt(18)
	v_mul_f32_e32 v6, v21, v19
	v_mul_f32_e32 v5, v20, v19
	v_fmac_f32_e32 v8, v14, v16
	v_fmac_f32_e32 v6, v20, v18
	v_fma_f32 v7, v21, v18, -v5
	s_waitcnt vmcnt(16)
	v_mul_f32_e32 v5, v22, v25
	v_mul_f32_e32 v10, v23, v25
	ds_write2_b64 v220, v[8:9], v[6:7] offset0:63 offset1:88
	v_fma_f32 v11, v23, v24, -v5
	s_waitcnt vmcnt(14)
	v_mul_f32_e32 v6, v27, v29
	v_mul_f32_e32 v5, v26, v29
	v_fmac_f32_e32 v10, v22, v24
	;; [unrolled: 11-line block ×4, first 2 shown]
	v_fmac_f32_e32 v6, v48, v42
	v_fma_f32 v7, v49, v42, -v5
	s_waitcnt vmcnt(3)
	v_mul_f32_e32 v8, v1, v47
	ds_write2_b64 v220, v[10:11], v[6:7] offset0:213 offset1:238
	s_waitcnt vmcnt(2)
	v_mul_f32_e32 v6, v55, v45
	v_mul_f32_e32 v5, v54, v45
	v_fmac_f32_e32 v8, v0, v46
	v_mul_f32_e32 v0, v0, v47
	v_fmac_f32_e32 v6, v54, v44
	v_fma_f32 v7, v55, v44, -v5
	v_fma_f32 v9, v1, v46, -v0
	v_add_u32_e32 v0, 0x800, v220
	ds_write2_b64 v0, v[6:7], v[8:9] offset0:7 offset1:32
	s_waitcnt vmcnt(0)
	v_mul_f32_e32 v0, v3, v51
	v_mul_f32_e32 v1, v2, v51
	v_fmac_f32_e32 v0, v2, v50
	v_fma_f32 v1, v3, v50, -v1
	ds_write_b64 v220, v[0:1] offset:2504
.LBB0_3:
	s_or_b64 exec, exec, s[14:15]
	s_waitcnt lgkmcnt(0)
	; wave barrier
	s_waitcnt lgkmcnt(0)
	ds_read2_b64 v[24:27], v220 offset1:25
	ds_read2_b64 v[44:47], v220 offset0:50 offset1:75
	ds_read2_b64 v[40:43], v220 offset0:100 offset1:125
	;; [unrolled: 1-line block ×5, first 2 shown]
	ds_read_b64 v[90:91], v220 offset:2400
	s_load_dwordx2 s[0:1], s[0:1], 0x8
	v_mov_b64_e32 v[0:1], 0
                                        ; implicit-def: $vgpr6
                                        ; implicit-def: $vgpr12
                                        ; implicit-def: $vgpr10
                                        ; implicit-def: $vgpr20
                                        ; implicit-def: $vgpr18
                                        ; implicit-def: $vgpr68
	s_and_saveexec_b64 s[8:9], vcc
	s_cbranch_execz .LBB0_5
; %bb.4:
	ds_read2_b64 v[0:3], v220 offset0:13 offset1:38
	ds_read2_b64 v[16:19], v220 offset0:63 offset1:88
	;; [unrolled: 1-line block ×5, first 2 shown]
	v_add_u32_e32 v20, 0x800, v220
	ds_read2_b64 v[20:23], v20 offset0:7 offset1:32
	ds_read_b64 v[68:69], v220 offset:2504
.LBB0_5:
	s_or_b64 exec, exec, s[8:9]
	s_waitcnt lgkmcnt(0)
	v_pk_add_f32 v[92:93], v[24:25], v[26:27]
	v_pk_add_f32 v[152:153], v[30:31], v[44:45]
	v_pk_add_f32 v[96:97], v[44:45], v[30:31] neg_lo:[0,1] neg_hi:[0,1]
	v_pk_add_f32 v[44:45], v[92:93], v[44:45]
	v_pk_add_f32 v[116:117], v[34:35], v[40:41]
	v_pk_add_f32 v[44:45], v[44:45], v[46:47]
	v_pk_add_f32 v[100:101], v[40:41], v[34:35] neg_lo:[0,1] neg_hi:[0,1]
	v_pk_add_f32 v[40:41], v[44:45], v[40:41]
	;; [unrolled: 4-line block ×3, first 2 shown]
	v_pk_add_f32 v[114:115], v[32:33], v[42:43]
	v_pk_add_f32 v[36:37], v[36:37], v[38:39]
	v_pk_add_f32 v[104:105], v[42:43], v[32:33] neg_lo:[0,1] neg_hi:[0,1]
	v_pk_add_f32 v[66:67], v[2:3], v[68:69] neg_lo:[0,1] neg_hi:[0,1]
	s_mov_b32 s38, 0xbeedf032
	v_pk_add_f32 v[32:33], v[36:37], v[32:33]
	v_pk_add_f32 v[154:155], v[90:91], v[26:27]
	v_pk_add_f32 v[94:95], v[26:27], v[90:91] neg_lo:[0,1] neg_hi:[0,1]
	v_pk_add_f32 v[64:65], v[68:69], v[2:3]
	v_pk_add_f32 v[62:63], v[16:17], v[22:23] neg_lo:[0,1] neg_hi:[0,1]
	s_mov_b32 s14, 0x3f62ad3f
	v_pk_mul_f32 v[72:73], v[66:67], s[38:39] op_sel_hi:[1,0]
	s_mov_b32 s24, 0xbf52af12
	v_pk_add_f32 v[32:33], v[32:33], v[34:35]
	v_pk_add_f32 v[118:119], v[28:29], v[46:47]
	v_pk_add_f32 v[98:99], v[46:47], v[28:29] neg_lo:[0,1] neg_hi:[0,1]
	v_pk_add_f32 v[60:61], v[22:23], v[16:17]
	v_pk_fma_f32 v[70:71], v[64:65], s[14:15], v[72:73] op_sel:[0,0,1] op_sel_hi:[1,0,0]
	v_pk_fma_f32 v[72:73], v[64:65], s[14:15], v[72:73] op_sel:[0,0,1] op_sel_hi:[1,0,0] neg_lo:[0,0,1] neg_hi:[0,0,1]
	s_mov_b32 s10, 0x3f116cb1
	v_pk_mul_f32 v[76:77], v[62:63], s[24:25] op_sel_hi:[1,0]
	v_pk_add_f32 v[28:29], v[32:33], v[28:29]
	v_mov_b32_e32 v33, v155
	v_mov_b32_e32 v155, v94
	s_mov_b32 s15, s38
	v_pk_add_f32 v[58:59], v[18:19], v[20:21] neg_lo:[0,1] neg_hi:[0,1]
	v_pk_fma_f32 v[74:75], v[60:61], s[10:11], v[76:77] op_sel:[0,0,1] op_sel_hi:[1,0,0]
	v_pk_fma_f32 v[76:77], v[60:61], s[10:11], v[76:77] op_sel:[0,0,1] op_sel_hi:[1,0,0] neg_lo:[0,0,1] neg_hi:[0,0,1]
	s_mov_b32 s26, 0xbf7e222b
	v_pk_add_f32 v[28:29], v[28:29], v[30:31]
	v_mov_b32_e32 v32, v95
	s_mov_b32 s39, s14
	v_pk_mul_f32 v[36:37], v[154:155], s[14:15]
	v_mov_b32_e32 v39, v153
	v_mov_b32_e32 v153, v96
	s_mov_b32 s11, s24
	v_pk_add_f32 v[56:57], v[20:21], v[18:19]
	s_mov_b32 s8, 0x3df6dbef
	v_pk_mul_f32 v[80:81], v[58:59], s[26:27] op_sel_hi:[1,0]
	v_pk_add_f32 v[120:121], v[28:29], v[90:91]
	v_pk_fma_f32 v[28:29], v[32:33], s[38:39], v[36:37] neg_lo:[1,0,0] neg_hi:[1,0,0]
	v_pk_fma_f32 v[34:35], v[32:33], s[38:39], v[36:37]
	v_mov_b32_e32 v38, v97
	s_mov_b32 s25, s10
	v_pk_mul_f32 v[44:45], v[152:153], s[10:11]
	v_pk_add_f32 v[54:55], v[8:9], v[14:15] neg_lo:[0,1] neg_hi:[0,1]
	v_pk_fma_f32 v[78:79], v[56:57], s[8:9], v[80:81] op_sel:[0,0,1] op_sel_hi:[1,0,0]
	v_pk_fma_f32 v[80:81], v[56:57], s[8:9], v[80:81] op_sel:[0,0,1] op_sel_hi:[1,0,0] neg_lo:[0,0,1] neg_hi:[0,0,1]
	s_mov_b32 s18, 0xbf6f5d39
	v_mov_b32_e32 v29, v35
	v_pk_fma_f32 v[30:31], v[38:39], s[24:25], v[44:45] neg_lo:[1,0,0] neg_hi:[1,0,0]
	v_pk_fma_f32 v[40:41], v[38:39], s[24:25], v[44:45]
	v_mov_b32_e32 v91, v119
	v_mov_b32_e32 v119, v98
	s_mov_b32 s9, s26
	v_pk_add_f32 v[52:53], v[14:15], v[8:9]
	s_mov_b32 s16, 0xbeb58ec6
	v_pk_mul_f32 v[84:85], v[54:55], s[18:19] op_sel_hi:[1,0]
	v_pk_add_f32 v[28:29], v[24:25], v[28:29]
	v_mov_b32_e32 v31, v41
	v_mov_b32_e32 v90, v99
	s_mov_b32 s27, s8
	v_pk_mul_f32 v[94:95], v[118:119], s[8:9]
	v_pk_add_f32 v[50:51], v[10:11], v[12:13] neg_lo:[0,1] neg_hi:[0,1]
	v_pk_fma_f32 v[82:83], v[52:53], s[16:17], v[84:85] op_sel:[0,0,1] op_sel_hi:[1,0,0]
	v_pk_fma_f32 v[84:85], v[52:53], s[16:17], v[84:85] op_sel:[0,0,1] op_sel_hi:[1,0,0] neg_lo:[0,0,1] neg_hi:[0,0,1]
	s_mov_b32 s22, 0xbf29c268
	v_pk_add_f32 v[28:29], v[30:31], v[28:29]
	v_pk_fma_f32 v[30:31], v[90:91], s[26:27], v[94:95] neg_lo:[1,0,0] neg_hi:[1,0,0]
	v_pk_fma_f32 v[92:93], v[90:91], s[26:27], v[94:95]
	v_mov_b32_e32 v97, v117
	v_mov_b32_e32 v117, v100
	s_mov_b32 s17, s18
	v_pk_add_f32 v[26:27], v[12:13], v[10:11]
	s_mov_b32 s20, 0xbf3f9e67
	v_pk_mul_f32 v[88:89], v[50:51], s[22:23] op_sel_hi:[1,0]
	v_mov_b32_e32 v31, v93
	v_mov_b32_e32 v96, v101
	s_mov_b32 s19, s16
	v_pk_mul_f32 v[100:101], v[116:117], s[16:17]
	v_pk_fma_f32 v[86:87], v[26:27], s[20:21], v[88:89] op_sel:[0,0,1] op_sel_hi:[1,0,0]
	v_pk_fma_f32 v[88:89], v[26:27], s[20:21], v[88:89] op_sel:[0,0,1] op_sel_hi:[1,0,0] neg_lo:[0,0,1] neg_hi:[0,0,1]
	v_pk_add_f32 v[28:29], v[30:31], v[28:29]
	v_pk_fma_f32 v[30:31], v[96:97], s[18:19], v[100:101] neg_lo:[1,0,0] neg_hi:[1,0,0]
	v_pk_fma_f32 v[98:99], v[96:97], s[18:19], v[100:101]
	v_mov_b32_e32 v103, v115
	v_mov_b32_e32 v115, v104
	s_mov_b32 s21, s22
	v_mov_b32_e32 v31, v99
	v_mov_b32_e32 v102, v105
	s_mov_b32 s23, s20
	v_pk_mul_f32 v[106:107], v[114:115], s[20:21]
	v_pk_add_f32 v[28:29], v[30:31], v[28:29]
	v_pk_fma_f32 v[30:31], v[102:103], s[22:23], v[106:107] neg_lo:[1,0,0] neg_hi:[1,0,0]
	v_pk_fma_f32 v[104:105], v[102:103], s[22:23], v[106:107]
	s_mov_b32 s30, 0xbe750f2a
	v_mov_b32_e32 v31, v105
	v_pk_add_f32 v[122:123], v[30:31], v[28:29]
	v_pk_add_f32 v[30:31], v[4:5], v[6:7] neg_lo:[0,1] neg_hi:[0,1]
	v_pk_add_f32 v[28:29], v[6:7], v[4:5]
	s_mov_b32 s28, 0xbf788fa5
	v_pk_mul_f32 v[46:47], v[30:31], s[30:31] op_sel_hi:[1,0]
	v_mov_b32_e32 v109, v49
	v_mov_b32_e32 v49, v110
	v_pk_fma_f32 v[42:43], v[28:29], s[28:29], v[46:47] op_sel:[0,0,1] op_sel_hi:[1,0,0]
	v_pk_fma_f32 v[46:47], v[28:29], s[28:29], v[46:47] op_sel:[0,0,1] op_sel_hi:[1,0,0] neg_lo:[0,0,1] neg_hi:[0,0,1]
	s_mov_b32 s29, s30
	v_mov_b32_e32 v108, v111
	s_mov_b32 s31, s28
	v_pk_mul_f32 v[112:113], v[48:49], s[28:29]
	v_mul_lo_u16_e32 v35, 13, v248
	v_pk_fma_f32 v[124:125], v[108:109], s[30:31], v[112:113] neg_lo:[1,0,0] neg_hi:[1,0,0]
	v_pk_fma_f32 v[110:111], v[108:109], s[30:31], v[112:113]
	v_lshl_add_u32 v35, v35, 3, v221
	v_mov_b32_e32 v125, v111
	v_pk_add_f32 v[122:123], v[124:125], v[122:123]
	v_pk_mul_f32 v[126:127], v[154:155], s[10:11]
	s_waitcnt lgkmcnt(0)
	; wave barrier
	ds_write2_b64 v35, v[120:121], v[122:123] offset1:1
	v_pk_fma_f32 v[120:121], v[32:33], s[24:25], v[126:127] neg_lo:[1,0,0] neg_hi:[1,0,0]
	v_pk_fma_f32 v[124:125], v[32:33], s[24:25], v[126:127]
	v_pk_mul_f32 v[130:131], v[152:153], s[16:17]
	v_mov_b32_e32 v121, v125
	v_pk_fma_f32 v[122:123], v[38:39], s[18:19], v[130:131] neg_lo:[1,0,0] neg_hi:[1,0,0]
	v_pk_fma_f32 v[128:129], v[38:39], s[18:19], v[130:131]
	v_pk_add_f32 v[120:121], v[24:25], v[120:121]
	v_mov_b32_e32 v123, v129
	v_pk_mul_f32 v[134:135], v[118:119], s[28:29]
	s_mov_b32 s40, 0x3f29c268
	v_pk_add_f32 v[120:121], v[122:123], v[120:121]
	v_pk_fma_f32 v[122:123], v[90:91], s[30:31], v[134:135] neg_lo:[1,0,0] neg_hi:[1,0,0]
	v_pk_fma_f32 v[132:133], v[90:91], s[30:31], v[134:135]
	s_mov_b32 s42, s20
	s_mov_b32 s43, s40
	v_mov_b32_e32 v123, v133
	s_mov_b32 s41, s20
	v_pk_mul_f32 v[138:139], v[116:117], s[42:43]
	s_mov_b32 s34, 0x3f7e222b
	v_pk_add_f32 v[120:121], v[122:123], v[120:121]
	v_pk_fma_f32 v[122:123], v[96:97], s[40:41], v[138:139] neg_lo:[1,0,0] neg_hi:[1,0,0]
	v_pk_fma_f32 v[136:137], v[96:97], s[40:41], v[138:139]
	s_mov_b32 s48, s8
	s_mov_b32 s49, s34
	v_mov_b32_e32 v123, v137
	s_mov_b32 s35, s8
	v_pk_mul_f32 v[156:157], v[114:115], s[48:49]
	s_mov_b32 s36, 0x3eedf032
	v_pk_add_f32 v[120:121], v[122:123], v[120:121]
	v_pk_fma_f32 v[122:123], v[102:103], s[34:35], v[156:157] neg_lo:[1,0,0] neg_hi:[1,0,0]
	v_pk_fma_f32 v[140:141], v[102:103], s[34:35], v[156:157]
	s_mov_b32 s15, s36
	v_mov_b32_e32 v123, v141
	s_mov_b32 s37, s14
	v_pk_mul_f32 v[146:147], v[48:49], s[14:15]
	v_pk_add_f32 v[120:121], v[122:123], v[120:121]
	v_pk_fma_f32 v[122:123], v[108:109], s[36:37], v[146:147] neg_lo:[1,0,0] neg_hi:[1,0,0]
	v_pk_fma_f32 v[144:145], v[108:109], s[36:37], v[146:147]
	v_pk_mul_f32 v[148:149], v[152:153], s[28:29]
	v_mov_b32_e32 v123, v145
	v_pk_add_f32 v[166:167], v[122:123], v[120:121]
	v_pk_mul_f32 v[122:123], v[154:155], s[8:9]
	v_pk_fma_f32 v[158:159], v[38:39], s[30:31], v[148:149] neg_lo:[1,0,0] neg_hi:[1,0,0]
	v_pk_fma_f32 v[142:143], v[32:33], s[26:27], v[122:123] neg_lo:[1,0,0] neg_hi:[1,0,0]
	v_pk_fma_f32 v[120:121], v[32:33], s[26:27], v[122:123]
	s_mov_b32 s46, 0x3f6f5d39
	v_mov_b32_e32 v143, v121
	v_pk_add_f32 v[150:151], v[24:25], v[142:143]
	v_pk_fma_f32 v[142:143], v[38:39], s[30:31], v[148:149]
	s_mov_b32 s44, s16
	v_mov_b32_e32 v159, v143
	s_mov_b32 s45, s46
	v_pk_add_f32 v[160:161], v[158:159], v[150:151]
	s_mov_b32 s47, s16
	v_pk_mul_f32 v[158:159], v[118:119], s[44:45]
	v_pk_mul_f32 v[170:171], v[114:115], s[10:11]
	v_pk_fma_f32 v[162:163], v[90:91], s[46:47], v[158:159] neg_lo:[1,0,0] neg_hi:[1,0,0]
	v_pk_fma_f32 v[150:151], v[90:91], s[46:47], v[158:159]
	v_pk_fma_f32 v[172:173], v[102:103], s[24:25], v[170:171] neg_lo:[1,0,0] neg_hi:[1,0,0]
	v_mov_b32_e32 v163, v151
	v_pk_add_f32 v[164:165], v[162:163], v[160:161]
	v_pk_mul_f32 v[162:163], v[116:117], s[14:15]
	v_pk_mul_f32 v[178:179], v[152:153], s[42:43]
	v_pk_fma_f32 v[168:169], v[96:97], s[36:37], v[162:163] neg_lo:[1,0,0] neg_hi:[1,0,0]
	v_pk_fma_f32 v[160:161], v[96:97], s[36:37], v[162:163]
	v_pk_fma_f32 v[180:181], v[38:39], s[40:41], v[178:179] neg_lo:[1,0,0] neg_hi:[1,0,0]
	v_mov_b32_e32 v169, v161
	v_pk_add_f32 v[168:169], v[168:169], v[164:165]
	v_pk_fma_f32 v[164:165], v[102:103], s[24:25], v[170:171]
	v_pk_fma_f32 v[182:183], v[38:39], s[40:41], v[178:179]
	v_mov_b32_e32 v173, v165
	v_pk_add_f32 v[168:169], v[172:173], v[168:169]
	v_pk_mul_f32 v[172:173], v[48:49], s[20:21]
	v_mov_b32_e32 v181, v183
	v_pk_fma_f32 v[174:175], v[108:109], s[22:23], v[172:173] neg_lo:[1,0,0] neg_hi:[1,0,0]
	v_pk_fma_f32 v[176:177], v[108:109], s[22:23], v[172:173]
	s_mov_b32 s44, 0x3e750f2a
	v_mov_b32_e32 v175, v177
	v_pk_add_f32 v[168:169], v[174:175], v[168:169]
	ds_write2_b64 v35, v[166:167], v[168:169] offset0:2 offset1:3
	v_pk_mul_f32 v[166:167], v[154:155], s[16:17]
	s_mov_b32 s50, s28
	v_pk_fma_f32 v[168:169], v[32:33], s[18:19], v[166:167] neg_lo:[1,0,0] neg_hi:[1,0,0]
	v_pk_fma_f32 v[174:175], v[32:33], s[18:19], v[166:167]
	s_mov_b32 s51, s44
	v_mov_b32_e32 v169, v175
	v_pk_add_f32 v[168:169], v[24:25], v[168:169]
	s_mov_b32 s45, s28
	v_pk_add_f32 v[168:169], v[180:181], v[168:169]
	v_pk_mul_f32 v[180:181], v[118:119], s[14:15]
	s_mov_b32 s42, 0x3f52af12
	v_pk_fma_f32 v[184:185], v[90:91], s[36:37], v[180:181] neg_lo:[1,0,0] neg_hi:[1,0,0]
	v_pk_fma_f32 v[186:187], v[90:91], s[36:37], v[180:181]
	s_mov_b32 s52, s10
	v_mov_b32_e32 v185, v187
	v_pk_add_f32 v[168:169], v[184:185], v[168:169]
	v_pk_mul_f32 v[184:185], v[116:117], s[8:9]
	s_mov_b32 s53, s42
	v_pk_fma_f32 v[188:189], v[96:97], s[26:27], v[184:185] neg_lo:[1,0,0] neg_hi:[1,0,0]
	v_pk_fma_f32 v[190:191], v[96:97], s[26:27], v[184:185]
	s_mov_b32 s43, s10
	v_mov_b32_e32 v189, v191
	v_pk_add_f32 v[168:169], v[188:189], v[168:169]
	v_pk_mul_f32 v[188:189], v[114:115], s[50:51]
	v_pk_mul_f32 v[204:205], v[152:153], s[48:49]
	v_pk_fma_f32 v[192:193], v[102:103], s[44:45], v[188:189] neg_lo:[1,0,0] neg_hi:[1,0,0]
	v_pk_fma_f32 v[194:195], v[102:103], s[44:45], v[188:189]
	v_pk_fma_f32 v[206:207], v[38:39], s[34:35], v[204:205] neg_lo:[1,0,0] neg_hi:[1,0,0]
	v_mov_b32_e32 v193, v195
	v_pk_add_f32 v[168:169], v[192:193], v[168:169]
	v_pk_mul_f32 v[192:193], v[48:49], s[52:53]
	v_pk_fma_f32 v[208:209], v[38:39], s[34:35], v[204:205]
	v_pk_fma_f32 v[196:197], v[108:109], s[42:43], v[192:193] neg_lo:[1,0,0] neg_hi:[1,0,0]
	v_pk_fma_f32 v[198:199], v[108:109], s[42:43], v[192:193]
	v_mov_b32_e32 v207, v209
	v_mov_b32_e32 v197, v199
	v_pk_add_f32 v[168:169], v[196:197], v[168:169]
	v_pk_mul_f32 v[196:197], v[154:155], s[20:21]
	v_pk_mul_f32 v[154:155], v[154:155], s[28:29]
	v_pk_fma_f32 v[200:201], v[32:33], s[22:23], v[196:197] neg_lo:[1,0,0] neg_hi:[1,0,0]
	v_pk_fma_f32 v[202:203], v[32:33], s[22:23], v[196:197]
	v_pk_mul_f32 v[152:153], v[152:153], s[14:15]
	v_mov_b32_e32 v201, v203
	v_pk_add_f32 v[200:201], v[24:25], v[200:201]
	v_pk_fma_f32 v[230:231], v[38:39], s[36:37], v[152:153]
	v_pk_add_f32 v[200:201], v[206:207], v[200:201]
	v_pk_mul_f32 v[206:207], v[118:119], s[10:11]
	v_pk_mul_f32 v[118:119], v[118:119], s[20:21]
	v_pk_fma_f32 v[210:211], v[90:91], s[24:25], v[206:207] neg_lo:[1,0,0] neg_hi:[1,0,0]
	v_pk_fma_f32 v[212:213], v[90:91], s[24:25], v[206:207]
	v_pk_fma_f32 v[232:233], v[90:91], s[22:23], v[118:119]
	v_mov_b32_e32 v211, v213
	v_pk_add_f32 v[200:201], v[210:211], v[200:201]
	v_pk_mul_f32 v[210:211], v[116:117], s[50:51]
	v_pk_mul_f32 v[116:117], v[116:117], s[52:53]
	v_pk_fma_f32 v[214:215], v[96:97], s[44:45], v[210:211] neg_lo:[1,0,0] neg_hi:[1,0,0]
	v_pk_fma_f32 v[218:219], v[96:97], s[44:45], v[210:211]
	v_pk_fma_f32 v[234:235], v[96:97], s[42:43], v[116:117]
	v_mov_b32_e32 v215, v219
	;; [unrolled: 7-line block ×4, first 2 shown]
	v_pk_add_f32 v[200:201], v[226:227], v[200:201]
	ds_write2_b64 v35, v[168:169], v[200:201] offset0:4 offset1:5
	v_pk_fma_f32 v[168:169], v[32:33], s[30:31], v[154:155] neg_lo:[1,0,0] neg_hi:[1,0,0]
	v_pk_fma_f32 v[200:201], v[32:33], s[30:31], v[154:155]
	v_pk_fma_f32 v[226:227], v[38:39], s[36:37], v[152:153] neg_lo:[1,0,0] neg_hi:[1,0,0]
	v_mov_b32_e32 v169, v201
	v_pk_add_f32 v[168:169], v[24:25], v[168:169]
	v_mov_b32_e32 v227, v231
	v_pk_add_f32 v[168:169], v[226:227], v[168:169]
	v_pk_fma_f32 v[226:227], v[90:91], s[22:23], v[118:119] neg_lo:[1,0,0] neg_hi:[1,0,0]
	v_pk_fma_f32 v[154:155], v[32:33], s[30:31], v[154:155] neg_lo:[0,0,1] neg_hi:[0,0,1]
	v_mov_b32_e32 v227, v233
	v_pk_add_f32 v[168:169], v[226:227], v[168:169]
	v_pk_fma_f32 v[226:227], v[96:97], s[42:43], v[116:117] neg_lo:[1,0,0] neg_hi:[1,0,0]
	v_mov_b32_e32 v201, v155
	v_pk_fma_f32 v[152:153], v[38:39], s[36:37], v[152:153] neg_lo:[0,0,1] neg_hi:[0,0,1]
	v_mov_b32_e32 v227, v235
	v_mov_b32_e32 v231, v153
	v_pk_add_f32 v[152:153], v[24:25], v[200:201]
	v_pk_fma_f32 v[118:119], v[90:91], s[22:23], v[118:119] neg_lo:[0,0,1] neg_hi:[0,0,1]
	v_pk_add_f32 v[168:169], v[226:227], v[168:169]
	v_pk_fma_f32 v[226:227], v[102:103], s[18:19], v[114:115] neg_lo:[1,0,0] neg_hi:[1,0,0]
	v_pk_add_f32 v[152:153], v[230:231], v[152:153]
	v_mov_b32_e32 v233, v119
	v_pk_fma_f32 v[116:117], v[96:97], s[42:43], v[116:117] neg_lo:[0,0,1] neg_hi:[0,0,1]
	v_mov_b32_e32 v227, v237
	v_pk_add_f32 v[118:119], v[232:233], v[152:153]
	v_mov_b32_e32 v235, v117
	v_pk_fma_f32 v[114:115], v[102:103], s[18:19], v[114:115] neg_lo:[0,0,1] neg_hi:[0,0,1]
	v_pk_add_f32 v[168:169], v[226:227], v[168:169]
	v_pk_fma_f32 v[226:227], v[108:109], s[34:35], v[48:49] neg_lo:[1,0,0] neg_hi:[1,0,0]
	v_pk_add_f32 v[116:117], v[234:235], v[118:119]
	v_mov_b32_e32 v237, v115
	v_pk_fma_f32 v[48:49], v[108:109], s[34:35], v[48:49] neg_lo:[0,0,1] neg_hi:[0,0,1]
	v_mov_b32_e32 v227, v239
	v_pk_add_f32 v[114:115], v[236:237], v[116:117]
	v_mov_b32_e32 v239, v49
	v_pk_add_f32 v[48:49], v[238:239], v[114:115]
	v_pk_fma_f32 v[114:115], v[90:91], s[24:25], v[206:207] neg_lo:[0,0,1] neg_hi:[0,0,1]
	v_pk_add_f32 v[168:169], v[226:227], v[168:169]
	v_mov_b32_e32 v213, v115
	v_pk_fma_f32 v[114:115], v[96:97], s[44:45], v[210:211] neg_lo:[0,0,1] neg_hi:[0,0,1]
	ds_write2_b64 v35, v[168:169], v[48:49] offset0:6 offset1:7
	v_mov_b32_e32 v219, v115
	v_pk_fma_f32 v[114:115], v[102:103], s[36:37], v[214:215] neg_lo:[0,0,1] neg_hi:[0,0,1]
	v_pk_fma_f32 v[48:49], v[32:33], s[22:23], v[196:197] neg_lo:[0,0,1] neg_hi:[0,0,1]
	v_mov_b32_e32 v225, v115
	v_pk_fma_f32 v[114:115], v[108:109], s[18:19], v[222:223] neg_lo:[0,0,1] neg_hi:[0,0,1]
	v_mov_b32_e32 v203, v49
	v_mov_b32_e32 v229, v115
	v_pk_fma_f32 v[114:115], v[32:33], s[18:19], v[166:167] neg_lo:[0,0,1] neg_hi:[0,0,1]
	v_pk_fma_f32 v[48:49], v[38:39], s[34:35], v[204:205] neg_lo:[0,0,1] neg_hi:[0,0,1]
	v_mov_b32_e32 v175, v115
	v_pk_fma_f32 v[114:115], v[38:39], s[40:41], v[178:179] neg_lo:[0,0,1] neg_hi:[0,0,1]
	v_mov_b32_e32 v209, v49
	v_pk_add_f32 v[48:49], v[24:25], v[202:203]
	v_mov_b32_e32 v183, v115
	v_pk_add_f32 v[114:115], v[24:25], v[174:175]
	v_pk_fma_f32 v[116:117], v[90:91], s[36:37], v[180:181] neg_lo:[0,0,1] neg_hi:[0,0,1]
	v_pk_add_f32 v[48:49], v[208:209], v[48:49]
	v_pk_add_f32 v[114:115], v[182:183], v[114:115]
	v_mov_b32_e32 v187, v117
	v_pk_fma_f32 v[116:117], v[96:97], s[26:27], v[184:185] neg_lo:[0,0,1] neg_hi:[0,0,1]
	v_pk_add_f32 v[48:49], v[212:213], v[48:49]
	v_pk_add_f32 v[114:115], v[186:187], v[114:115]
	v_mov_b32_e32 v191, v117
	;; [unrolled: 4-line block ×4, first 2 shown]
	v_pk_add_f32 v[48:49], v[228:229], v[48:49]
	v_pk_add_f32 v[114:115], v[198:199], v[114:115]
	ds_write2_b64 v35, v[48:49], v[114:115] offset0:8 offset1:9
	v_pk_fma_f32 v[48:49], v[32:33], s[26:27], v[122:123] neg_lo:[0,0,1] neg_hi:[0,0,1]
	v_pk_fma_f32 v[114:115], v[90:91], s[46:47], v[158:159] neg_lo:[0,0,1] neg_hi:[0,0,1]
	v_mov_b32_e32 v121, v49
	v_pk_fma_f32 v[48:49], v[38:39], s[30:31], v[148:149] neg_lo:[0,0,1] neg_hi:[0,0,1]
	v_mov_b32_e32 v151, v115
	v_mov_b32_e32 v143, v49
	v_pk_add_f32 v[48:49], v[24:25], v[120:121]
	v_pk_fma_f32 v[114:115], v[96:97], s[36:37], v[162:163] neg_lo:[0,0,1] neg_hi:[0,0,1]
	v_pk_add_f32 v[48:49], v[142:143], v[48:49]
	v_mov_b32_e32 v161, v115
	v_pk_add_f32 v[48:49], v[150:151], v[48:49]
	v_pk_fma_f32 v[114:115], v[102:103], s[24:25], v[170:171] neg_lo:[0,0,1] neg_hi:[0,0,1]
	v_pk_add_f32 v[48:49], v[160:161], v[48:49]
	v_mov_b32_e32 v165, v115
	v_pk_fma_f32 v[114:115], v[108:109], s[22:23], v[172:173] neg_lo:[0,0,1] neg_hi:[0,0,1]
	v_pk_add_f32 v[48:49], v[164:165], v[48:49]
	v_mov_b32_e32 v177, v115
	v_pk_add_f32 v[114:115], v[176:177], v[48:49]
	v_pk_fma_f32 v[48:49], v[32:33], s[24:25], v[126:127] neg_lo:[0,0,1] neg_hi:[0,0,1]
	v_pk_fma_f32 v[116:117], v[90:91], s[30:31], v[134:135] neg_lo:[0,0,1] neg_hi:[0,0,1]
	v_mov_b32_e32 v125, v49
	v_pk_fma_f32 v[48:49], v[38:39], s[18:19], v[130:131] neg_lo:[0,0,1] neg_hi:[0,0,1]
	v_mov_b32_e32 v133, v117
	v_mov_b32_e32 v129, v49
	v_pk_add_f32 v[48:49], v[24:25], v[124:125]
	v_pk_fma_f32 v[116:117], v[96:97], s[40:41], v[138:139] neg_lo:[0,0,1] neg_hi:[0,0,1]
	v_pk_add_f32 v[48:49], v[128:129], v[48:49]
	v_mov_b32_e32 v137, v117
	v_pk_add_f32 v[48:49], v[132:133], v[48:49]
	v_pk_fma_f32 v[116:117], v[102:103], s[34:35], v[156:157] neg_lo:[0,0,1] neg_hi:[0,0,1]
	v_pk_add_f32 v[48:49], v[136:137], v[48:49]
	v_mov_b32_e32 v141, v117
	v_pk_fma_f32 v[116:117], v[108:109], s[36:37], v[146:147] neg_lo:[0,0,1] neg_hi:[0,0,1]
	v_pk_add_f32 v[48:49], v[140:141], v[48:49]
	v_mov_b32_e32 v145, v117
	v_pk_add_f32 v[116:117], v[144:145], v[48:49]
	v_pk_fma_f32 v[32:33], v[32:33], s[38:39], v[36:37] neg_lo:[0,0,1] neg_hi:[0,0,1]
	v_mov_b32_e32 v166, v35
	ds_write2_b64 v35, v[114:115], v[116:117] offset0:10 offset1:11
	v_mov_b32_e32 v35, v33
	v_pk_fma_f32 v[32:33], v[38:39], s[24:25], v[44:45] neg_lo:[0,0,1] neg_hi:[0,0,1]
	v_pk_add_f32 v[24:25], v[24:25], v[34:35]
	v_mov_b32_e32 v41, v33
	v_pk_fma_f32 v[32:33], v[90:91], s[26:27], v[94:95] neg_lo:[0,0,1] neg_hi:[0,0,1]
	v_mov_b32_e32 v114, v70
	v_mov_b32_e32 v115, v73
	v_pk_add_f32 v[24:25], v[40:41], v[24:25]
	v_mov_b32_e32 v93, v33
	v_pk_fma_f32 v[32:33], v[96:97], s[18:19], v[100:101] neg_lo:[0,0,1] neg_hi:[0,0,1]
	v_pk_add_f32 v[114:115], v[114:115], v[0:1]
	v_mov_b32_e32 v116, v74
	v_mov_b32_e32 v117, v77
	v_pk_add_f32 v[24:25], v[92:93], v[24:25]
	v_mov_b32_e32 v99, v33
	v_pk_fma_f32 v[32:33], v[102:103], s[22:23], v[106:107] neg_lo:[0,0,1] neg_hi:[0,0,1]
	v_pk_add_f32 v[114:115], v[116:117], v[114:115]
	;; [unrolled: 6-line block ×3, first 2 shown]
	v_mov_b32_e32 v116, v82
	v_mov_b32_e32 v117, v85
	v_pk_add_f32 v[24:25], v[104:105], v[24:25]
	v_mov_b32_e32 v111, v33
	v_lshl_add_u64 v[48:49], v[248:249], 0, 13
	v_pk_add_f32 v[114:115], v[116:117], v[114:115]
	v_mov_b32_e32 v116, v86
	v_mov_b32_e32 v117, v89
	v_pk_add_f32 v[24:25], v[110:111], v[24:25]
	v_pk_add_f32 v[114:115], v[116:117], v[114:115]
	v_mov_b32_e32 v116, v42
	v_mov_b32_e32 v117, v47
	ds_write_b64 v166, v[24:25] offset:96
	v_mul_u32_u24_e32 v24, 13, v48
	v_pk_add_f32 v[150:151], v[116:117], v[114:115]
	v_accvgpr_write_b32 a21, v24
	s_and_saveexec_b64 s[38:39], vcc
	s_cbranch_execz .LBB0_7
; %bb.6:
	v_pk_add_f32 v[2:3], v[2:3], v[0:1]
	v_mov_b32_e32 v73, v71
	v_pk_add_f32 v[2:3], v[16:17], v[2:3]
	v_mov_b32_e32 v77, v75
	;; [unrolled: 2-line block ×5, first 2 shown]
	v_pk_add_f32 v[2:3], v[4:5], v[2:3]
	v_pk_add_f32 v[4:5], v[72:73], v[0:1]
	;; [unrolled: 1-line block ×9, first 2 shown]
	v_accvgpr_read_b32 v24, a21
	v_pk_add_f32 v[2:3], v[22:23], v[2:3]
	v_pk_add_f32 v[4:5], v[88:89], v[4:5]
	v_mov_b32_e32 v47, v43
	v_lshl_add_u32 v49, v24, 3, v221
	v_pk_add_f32 v[2:3], v[68:69], v[2:3]
	v_pk_add_f32 v[4:5], v[46:47], v[4:5]
	ds_write2_b64 v49, v[2:3], v[4:5] offset1:1
	v_pk_mul_f32 v[4:5], v[66:67], s[24:25] op_sel_hi:[1,0]
	v_pk_mul_f32 v[8:9], v[62:63], s[18:19] op_sel_hi:[1,0]
	v_pk_fma_f32 v[2:3], v[64:65], s[10:11], v[4:5] op_sel:[0,0,1] op_sel_hi:[1,0,0] neg_lo:[0,0,1] neg_hi:[0,0,1]
	v_pk_fma_f32 v[4:5], v[64:65], s[10:11], v[4:5] op_sel:[0,0,1] op_sel_hi:[1,0,0]
	v_mov_b32_e32 v6, v2
	v_mov_b32_e32 v7, v5
	v_pk_add_f32 v[10:11], v[6:7], v[0:1]
	v_pk_fma_f32 v[6:7], v[60:61], s[16:17], v[8:9] op_sel:[0,0,1] op_sel_hi:[1,0,0] neg_lo:[0,0,1] neg_hi:[0,0,1]
	v_pk_fma_f32 v[8:9], v[60:61], s[16:17], v[8:9] op_sel:[0,0,1] op_sel_hi:[1,0,0]
	v_mov_b32_e32 v12, v6
	v_mov_b32_e32 v13, v9
	v_pk_add_f32 v[14:15], v[12:13], v[10:11]
	v_pk_mul_f32 v[12:13], v[58:59], s[30:31] op_sel_hi:[1,0]
	v_pk_mul_f32 v[40:41], v[62:63], s[30:31] op_sel_hi:[1,0]
	v_pk_fma_f32 v[10:11], v[56:57], s[28:29], v[12:13] op_sel:[0,0,1] op_sel_hi:[1,0,0] neg_lo:[0,0,1] neg_hi:[0,0,1]
	v_pk_fma_f32 v[12:13], v[56:57], s[28:29], v[12:13] op_sel:[0,0,1] op_sel_hi:[1,0,0]
	v_mov_b32_e32 v16, v10
	v_mov_b32_e32 v17, v13
	v_pk_add_f32 v[18:19], v[16:17], v[14:15]
	v_pk_mul_f32 v[16:17], v[54:55], s[40:41] op_sel_hi:[1,0]
	v_pk_fma_f32 v[42:43], v[60:61], s[28:29], v[40:41] op_sel:[0,0,1] op_sel_hi:[1,0,0] neg_lo:[0,0,1] neg_hi:[0,0,1]
	v_pk_fma_f32 v[14:15], v[52:53], s[20:21], v[16:17] op_sel:[0,0,1] op_sel_hi:[1,0,0] neg_lo:[0,0,1] neg_hi:[0,0,1]
	v_pk_fma_f32 v[16:17], v[52:53], s[20:21], v[16:17] op_sel:[0,0,1] op_sel_hi:[1,0,0]
	v_mov_b32_e32 v20, v14
	v_mov_b32_e32 v21, v17
	v_pk_add_f32 v[22:23], v[20:21], v[18:19]
	v_pk_mul_f32 v[20:21], v[50:51], s[34:35] op_sel_hi:[1,0]
	v_pk_fma_f32 v[40:41], v[60:61], s[28:29], v[40:41] op_sel:[0,0,1] op_sel_hi:[1,0,0]
	v_pk_fma_f32 v[18:19], v[26:27], s[8:9], v[20:21] op_sel:[0,0,1] op_sel_hi:[1,0,0] neg_lo:[0,0,1] neg_hi:[0,0,1]
	v_pk_fma_f32 v[20:21], v[26:27], s[8:9], v[20:21] op_sel:[0,0,1] op_sel_hi:[1,0,0]
	v_mov_b32_e32 v24, v18
	v_mov_b32_e32 v25, v21
	v_pk_add_f32 v[32:33], v[24:25], v[22:23]
	v_pk_mul_f32 v[24:25], v[30:31], s[36:37] op_sel_hi:[1,0]
	v_mov_b32_e32 v44, v42
	v_pk_fma_f32 v[22:23], v[28:29], s[14:15], v[24:25] op_sel:[0,0,1] op_sel_hi:[1,0,0] neg_lo:[0,0,1] neg_hi:[0,0,1]
	v_pk_fma_f32 v[24:25], v[28:29], s[14:15], v[24:25] op_sel:[0,0,1] op_sel_hi:[1,0,0]
	v_mov_b32_e32 v34, v22
	v_mov_b32_e32 v35, v25
	v_pk_add_f32 v[32:33], v[34:35], v[32:33]
	v_pk_mul_f32 v[34:35], v[66:67], s[26:27] op_sel_hi:[1,0]
	v_mov_b32_e32 v45, v41
	v_pk_fma_f32 v[36:37], v[64:65], s[8:9], v[34:35] op_sel:[0,0,1] op_sel_hi:[1,0,0] neg_lo:[0,0,1] neg_hi:[0,0,1]
	v_pk_fma_f32 v[34:35], v[64:65], s[8:9], v[34:35] op_sel:[0,0,1] op_sel_hi:[1,0,0]
	v_mov_b32_e32 v38, v36
	v_mov_b32_e32 v39, v35
	v_pk_add_f32 v[38:39], v[38:39], v[0:1]
	v_pk_mul_f32 v[82:83], v[62:63], s[40:41] op_sel_hi:[1,0]
	v_pk_add_f32 v[38:39], v[44:45], v[38:39]
	v_pk_mul_f32 v[44:45], v[58:59], s[46:47] op_sel_hi:[1,0]
	v_pk_fma_f32 v[84:85], v[60:61], s[20:21], v[82:83] op_sel:[0,0,1] op_sel_hi:[1,0,0] neg_lo:[0,0,1] neg_hi:[0,0,1]
	v_pk_fma_f32 v[46:47], v[56:57], s[16:17], v[44:45] op_sel:[0,0,1] op_sel_hi:[1,0,0] neg_lo:[0,0,1] neg_hi:[0,0,1]
	v_pk_fma_f32 v[44:45], v[56:57], s[16:17], v[44:45] op_sel:[0,0,1] op_sel_hi:[1,0,0]
	v_mov_b32_e32 v68, v46
	v_mov_b32_e32 v69, v45
	v_pk_add_f32 v[38:39], v[68:69], v[38:39]
	v_pk_mul_f32 v[68:69], v[54:55], s[36:37] op_sel_hi:[1,0]
	v_pk_fma_f32 v[82:83], v[60:61], s[20:21], v[82:83] op_sel:[0,0,1] op_sel_hi:[1,0,0]
	v_pk_fma_f32 v[70:71], v[52:53], s[14:15], v[68:69] op_sel:[0,0,1] op_sel_hi:[1,0,0] neg_lo:[0,0,1] neg_hi:[0,0,1]
	v_pk_fma_f32 v[68:69], v[52:53], s[14:15], v[68:69] op_sel:[0,0,1] op_sel_hi:[1,0,0]
	v_mov_b32_e32 v72, v70
	v_mov_b32_e32 v73, v69
	v_pk_add_f32 v[38:39], v[72:73], v[38:39]
	v_pk_mul_f32 v[72:73], v[50:51], s[24:25] op_sel_hi:[1,0]
	v_mov_b32_e32 v86, v84
	v_pk_fma_f32 v[74:75], v[26:27], s[10:11], v[72:73] op_sel:[0,0,1] op_sel_hi:[1,0,0] neg_lo:[0,0,1] neg_hi:[0,0,1]
	v_pk_fma_f32 v[72:73], v[26:27], s[10:11], v[72:73] op_sel:[0,0,1] op_sel_hi:[1,0,0]
	v_mov_b32_e32 v76, v74
	v_mov_b32_e32 v77, v73
	v_pk_add_f32 v[38:39], v[76:77], v[38:39]
	v_pk_mul_f32 v[76:77], v[30:31], s[22:23] op_sel_hi:[1,0]
	v_mov_b32_e32 v87, v83
	v_pk_fma_f32 v[78:79], v[28:29], s[20:21], v[76:77] op_sel:[0,0,1] op_sel_hi:[1,0,0] neg_lo:[0,0,1] neg_hi:[0,0,1]
	v_pk_fma_f32 v[76:77], v[28:29], s[20:21], v[76:77] op_sel:[0,0,1] op_sel_hi:[1,0,0]
	v_mov_b32_e32 v80, v78
	v_mov_b32_e32 v81, v77
	v_pk_add_f32 v[38:39], v[80:81], v[38:39]
	ds_write2_b64 v49, v[32:33], v[38:39] offset0:2 offset1:3
	v_pk_mul_f32 v[32:33], v[66:67], s[18:19] op_sel_hi:[1,0]
	v_pk_mul_f32 v[108:109], v[62:63], s[34:35] op_sel_hi:[1,0]
	v_pk_fma_f32 v[38:39], v[64:65], s[16:17], v[32:33] op_sel:[0,0,1] op_sel_hi:[1,0,0] neg_lo:[0,0,1] neg_hi:[0,0,1]
	v_pk_fma_f32 v[32:33], v[64:65], s[16:17], v[32:33] op_sel:[0,0,1] op_sel_hi:[1,0,0]
	v_mov_b32_e32 v80, v38
	v_mov_b32_e32 v81, v33
	v_pk_add_f32 v[80:81], v[80:81], v[0:1]
	v_pk_fma_f32 v[110:111], v[60:61], s[8:9], v[108:109] op_sel:[0,0,1] op_sel_hi:[1,0,0] neg_lo:[0,0,1] neg_hi:[0,0,1]
	v_pk_add_f32 v[80:81], v[86:87], v[80:81]
	v_pk_mul_f32 v[86:87], v[58:59], s[36:37] op_sel_hi:[1,0]
	v_pk_fma_f32 v[108:109], v[60:61], s[8:9], v[108:109] op_sel:[0,0,1] op_sel_hi:[1,0,0]
	v_pk_fma_f32 v[88:89], v[56:57], s[14:15], v[86:87] op_sel:[0,0,1] op_sel_hi:[1,0,0] neg_lo:[0,0,1] neg_hi:[0,0,1]
	v_pk_fma_f32 v[86:87], v[56:57], s[14:15], v[86:87] op_sel:[0,0,1] op_sel_hi:[1,0,0]
	v_mov_b32_e32 v90, v88
	v_mov_b32_e32 v91, v87
	v_pk_add_f32 v[80:81], v[90:91], v[80:81]
	v_pk_mul_f32 v[90:91], v[54:55], s[26:27] op_sel_hi:[1,0]
	v_mov_b32_e32 v112, v110
	v_pk_fma_f32 v[92:93], v[52:53], s[8:9], v[90:91] op_sel:[0,0,1] op_sel_hi:[1,0,0] neg_lo:[0,0,1] neg_hi:[0,0,1]
	v_pk_fma_f32 v[90:91], v[52:53], s[8:9], v[90:91] op_sel:[0,0,1] op_sel_hi:[1,0,0]
	v_mov_b32_e32 v94, v92
	v_mov_b32_e32 v95, v91
	v_pk_add_f32 v[80:81], v[94:95], v[80:81]
	v_pk_mul_f32 v[94:95], v[50:51], s[44:45] op_sel_hi:[1,0]
	v_mov_b32_e32 v113, v109
	v_pk_fma_f32 v[96:97], v[26:27], s[28:29], v[94:95] op_sel:[0,0,1] op_sel_hi:[1,0,0] neg_lo:[0,0,1] neg_hi:[0,0,1]
	v_pk_fma_f32 v[94:95], v[26:27], s[28:29], v[94:95] op_sel:[0,0,1] op_sel_hi:[1,0,0]
	v_mov_b32_e32 v98, v96
	v_mov_b32_e32 v99, v95
	v_pk_add_f32 v[80:81], v[98:99], v[80:81]
	v_pk_mul_f32 v[98:99], v[30:31], s[42:43] op_sel_hi:[1,0]
	v_pk_mul_f32 v[62:63], v[62:63], s[36:37] op_sel_hi:[1,0]
	v_pk_fma_f32 v[100:101], v[28:29], s[10:11], v[98:99] op_sel:[0,0,1] op_sel_hi:[1,0,0] neg_lo:[0,0,1] neg_hi:[0,0,1]
	v_pk_fma_f32 v[98:99], v[28:29], s[10:11], v[98:99] op_sel:[0,0,1] op_sel_hi:[1,0,0]
	v_mov_b32_e32 v102, v100
	v_mov_b32_e32 v103, v99
	v_pk_add_f32 v[80:81], v[102:103], v[80:81]
	v_pk_mul_f32 v[102:103], v[66:67], s[22:23] op_sel_hi:[1,0]
	v_pk_mul_f32 v[66:67], v[66:67], s[30:31] op_sel_hi:[1,0]
	v_pk_fma_f32 v[104:105], v[64:65], s[20:21], v[102:103] op_sel:[0,0,1] op_sel_hi:[1,0,0] neg_lo:[0,0,1] neg_hi:[0,0,1]
	v_pk_fma_f32 v[102:103], v[64:65], s[20:21], v[102:103] op_sel:[0,0,1] op_sel_hi:[1,0,0]
	v_mov_b32_e32 v106, v104
	v_mov_b32_e32 v107, v103
	v_pk_add_f32 v[106:107], v[106:107], v[0:1]
	v_mov_b32_e32 v103, v105
	v_pk_add_f32 v[106:107], v[112:113], v[106:107]
	v_pk_mul_f32 v[112:113], v[58:59], s[24:25] op_sel_hi:[1,0]
	v_pk_mul_f32 v[58:59], v[58:59], s[22:23] op_sel_hi:[1,0]
	v_pk_fma_f32 v[114:115], v[56:57], s[10:11], v[112:113] op_sel:[0,0,1] op_sel_hi:[1,0,0] neg_lo:[0,0,1] neg_hi:[0,0,1]
	v_pk_fma_f32 v[112:113], v[56:57], s[10:11], v[112:113] op_sel:[0,0,1] op_sel_hi:[1,0,0]
	v_mov_b32_e32 v116, v114
	v_mov_b32_e32 v117, v113
	v_pk_add_f32 v[106:107], v[116:117], v[106:107]
	v_pk_mul_f32 v[116:117], v[54:55], s[44:45] op_sel_hi:[1,0]
	v_pk_mul_f32 v[54:55], v[54:55], s[42:43] op_sel_hi:[1,0]
	v_pk_fma_f32 v[118:119], v[52:53], s[28:29], v[116:117] op_sel:[0,0,1] op_sel_hi:[1,0,0] neg_lo:[0,0,1] neg_hi:[0,0,1]
	v_pk_fma_f32 v[116:117], v[52:53], s[28:29], v[116:117] op_sel:[0,0,1] op_sel_hi:[1,0,0]
	v_mov_b32_e32 v120, v118
	;; [unrolled: 7-line block ×4, first 2 shown]
	v_mov_b32_e32 v129, v125
	v_pk_add_f32 v[106:107], v[128:129], v[106:107]
	ds_write2_b64 v49, v[80:81], v[106:107] offset0:4 offset1:5
	v_pk_fma_f32 v[80:81], v[64:65], s[28:29], v[66:67] op_sel:[0,0,1] op_sel_hi:[1,0,0] neg_lo:[0,0,1] neg_hi:[0,0,1]
	v_pk_fma_f32 v[64:65], v[64:65], s[28:29], v[66:67] op_sel:[0,0,1] op_sel_hi:[1,0,0]
	v_mov_b32_e32 v66, v80
	v_mov_b32_e32 v67, v65
	v_pk_fma_f32 v[106:107], v[60:61], s[14:15], v[62:63] op_sel:[0,0,1] op_sel_hi:[1,0,0] neg_lo:[0,0,1] neg_hi:[0,0,1]
	v_pk_fma_f32 v[60:61], v[60:61], s[14:15], v[62:63] op_sel:[0,0,1] op_sel_hi:[1,0,0]
	v_pk_add_f32 v[66:67], v[66:67], v[0:1]
	v_mov_b32_e32 v62, v106
	v_mov_b32_e32 v63, v61
	v_pk_add_f32 v[62:63], v[62:63], v[66:67]
	v_pk_fma_f32 v[66:67], v[56:57], s[20:21], v[58:59] op_sel:[0,0,1] op_sel_hi:[1,0,0] neg_lo:[0,0,1] neg_hi:[0,0,1]
	v_pk_fma_f32 v[56:57], v[56:57], s[20:21], v[58:59] op_sel:[0,0,1] op_sel_hi:[1,0,0]
	v_mov_b32_e32 v58, v66
	v_mov_b32_e32 v59, v57
	v_pk_add_f32 v[58:59], v[58:59], v[62:63]
	v_pk_fma_f32 v[62:63], v[52:53], s[10:11], v[54:55] op_sel:[0,0,1] op_sel_hi:[1,0,0] neg_lo:[0,0,1] neg_hi:[0,0,1]
	v_pk_fma_f32 v[52:53], v[52:53], s[10:11], v[54:55] op_sel:[0,0,1] op_sel_hi:[1,0,0]
	;; [unrolled: 5-line block ×4, first 2 shown]
	v_mov_b32_e32 v30, v54
	v_mov_b32_e32 v31, v29
	;; [unrolled: 1-line block ×3, first 2 shown]
	v_pk_add_f32 v[30:31], v[30:31], v[50:51]
	v_pk_add_f32 v[50:51], v[64:65], v[0:1]
	v_mov_b32_e32 v61, v107
	v_pk_add_f32 v[50:51], v[60:61], v[50:51]
	v_mov_b32_e32 v57, v67
	;; [unrolled: 2-line block ×6, first 2 shown]
	ds_write2_b64 v49, v[30:31], v[26:27] offset0:6 offset1:7
	v_pk_add_f32 v[26:27], v[102:103], v[0:1]
	v_mov_b32_e32 v109, v111
	v_pk_add_f32 v[28:29], v[32:33], v[0:1]
	v_mov_b32_e32 v83, v85
	;; [unrolled: 2-line block ×10, first 2 shown]
	v_pk_add_f32 v[26:27], v[124:125], v[26:27]
	v_pk_add_f32 v[28:29], v[98:99], v[28:29]
	v_mov_b32_e32 v35, v37
	v_mov_b32_e32 v5, v3
	ds_write2_b64 v49, v[26:27], v[28:29] offset0:8 offset1:9
	v_pk_add_f32 v[26:27], v[34:35], v[0:1]
	v_mov_b32_e32 v41, v43
	v_pk_add_f32 v[0:1], v[4:5], v[0:1]
	v_mov_b32_e32 v9, v7
	;; [unrolled: 2-line block ×10, first 2 shown]
	v_pk_add_f32 v[26:27], v[76:77], v[26:27]
	v_pk_add_f32 v[0:1], v[24:25], v[0:1]
	ds_write2_b64 v49, v[26:27], v[0:1] offset0:10 offset1:11
	ds_write_b64 v49, v[150:151] offset:96
.LBB0_7:
	s_or_b64 exec, exec, s[38:39]
	v_lshlrev_b32_e32 v49, 5, v248
	s_waitcnt lgkmcnt(0)
	; wave barrier
	s_waitcnt lgkmcnt(0)
	global_load_dwordx4 v[4:7], v49, s[0:1]
	global_load_dwordx4 v[0:3], v49, s[0:1] offset:16
	v_lshl_add_u64 v[46:47], v[248:249], 0, 52
	s_movk_i32 s9, 0x4f
	v_mul_lo_u16_sdwa v9, v46, s9 dst_sel:DWORD dst_unused:UNUSED_PAD src0_sel:BYTE_0 src1_sel:DWORD
	v_lshrrev_b16_e32 v9, 10, v9
	v_lshl_add_u64 v[44:45], v[248:249], 0, 39
	v_mul_lo_u16_e32 v9, 13, v9
	v_sub_u16_e32 v45, v46, v9
	v_lshlrev_b16_e32 v9, 2, v45
	v_and_b32_e32 v9, 0xfc, v9
	v_lshlrev_b32_e32 v9, 3, v9
	ds_read2_b64 v[36:39], v220 offset1:13
	ds_read2_b64 v[32:35], v220 offset0:52 offset1:65
	ds_read2_b64 v[40:43], v220 offset0:130 offset1:143
	;; [unrolled: 1-line block ×3, first 2 shown]
	global_load_dwordx4 v[20:23], v9, s[0:1] offset:16
	global_load_dwordx4 v[28:31], v9, s[0:1]
	v_lshl_add_u64 v[50:51], v[248:249], 0, 26
	v_mul_lo_u16_sdwa v8, v50, s9 dst_sel:DWORD dst_unused:UNUSED_PAD src0_sel:BYTE_0 src1_sel:DWORD
	v_mul_lo_u16_sdwa v9, v44, s9 dst_sel:DWORD dst_unused:UNUSED_PAD src0_sel:BYTE_0 src1_sel:DWORD
	v_lshrrev_b16_e32 v8, 10, v8
	v_lshrrev_b16_e32 v9, 10, v9
	v_mul_lo_u16_e32 v8, 13, v8
	v_mul_lo_u16_e32 v9, 13, v9
	v_sub_u16_e32 v47, v50, v8
	v_sub_u16_e32 v51, v44, v9
	v_lshlrev_b16_e32 v8, 2, v47
	v_lshlrev_b16_e32 v9, 2, v51
	v_and_b32_e32 v8, 0xfc, v8
	v_add_u32_e32 v98, 0x800, v220
	v_and_b32_e32 v9, 0xfc, v9
	v_lshlrev_b32_e32 v60, 3, v8
	ds_read2_b64 v[56:59], v98 offset0:4 offset1:17
	v_lshlrev_b32_e32 v61, 3, v9
	global_load_dwordx4 v[8:11], v60, s[0:1] offset:16
	global_load_dwordx4 v[12:15], v60, s[0:1]
	global_load_dwordx4 v[16:19], v61, s[0:1] offset:16
	global_load_dwordx4 v[24:27], v61, s[0:1]
	s_mov_b32 s14, 0x3f737871
	s_mov_b32 s10, 0x3f167918
	;; [unrolled: 1-line block ×3, first 2 shown]
	v_and_b32_e32 v45, 0xff, v45
	v_lshl_add_u32 v168, v45, 3, v221
	v_lshlrev_b32_e32 v48, 5, v48
	v_lshl_add_u32 v167, v248, 3, v221
	v_add_u32_e32 v99, 0x800, v167
	s_waitcnt vmcnt(7) lgkmcnt(3)
	v_pk_mul_f32 v[60:61], v[34:35], v[4:5] op_sel:[0,1]
	v_mov_b32_e32 v72, v7
	s_waitcnt vmcnt(6) lgkmcnt(1)
	v_pk_mul_f32 v[62:63], v[54:55], v[0:1] op_sel:[0,1]
	v_mov_b32_e32 v74, v3
	v_pk_fma_f32 v[64:65], v[34:35], v[4:5], v[60:61] op_sel:[0,0,1] op_sel_hi:[1,1,0] neg_lo:[0,0,1] neg_hi:[0,0,1]
	v_pk_fma_f32 v[34:35], v[34:35], v[4:5], v[60:61] op_sel:[0,0,1] op_sel_hi:[1,0,0]
	v_pk_mul_f32 v[60:61], v[40:41], v[72:73] op_sel_hi:[1,0]
	v_pk_fma_f32 v[66:67], v[54:55], v[0:1], v[62:63] op_sel:[0,0,1] op_sel_hi:[1,1,0] neg_lo:[0,0,1] neg_hi:[0,0,1]
	v_pk_fma_f32 v[54:55], v[54:55], v[0:1], v[62:63] op_sel:[0,0,1] op_sel_hi:[1,0,0]
	s_waitcnt lgkmcnt(0)
	v_pk_mul_f32 v[62:63], v[56:57], v[74:75] op_sel_hi:[1,0]
	v_mov_b32_e32 v65, v35
	v_pk_fma_f32 v[34:35], v[40:41], v[6:7], v[60:61] op_sel:[0,0,1] op_sel_hi:[1,1,0] neg_lo:[0,0,1] neg_hi:[0,0,1]
	v_pk_fma_f32 v[40:41], v[40:41], v[6:7], v[60:61] op_sel:[0,0,1] op_sel_hi:[1,0,0]
	v_mov_b32_e32 v67, v55
	v_pk_fma_f32 v[54:55], v[56:57], v[2:3], v[62:63] op_sel:[0,0,1] op_sel_hi:[1,1,0] neg_lo:[0,0,1] neg_hi:[0,0,1]
	v_pk_fma_f32 v[56:57], v[56:57], v[2:3], v[62:63] op_sel:[0,0,1] op_sel_hi:[1,0,0]
	v_mov_b32_e32 v35, v41
	v_mov_b32_e32 v55, v57
	v_pk_add_f32 v[40:41], v[36:37], v[64:65]
	v_pk_add_f32 v[56:57], v[34:35], v[66:67]
	;; [unrolled: 1-line block ×4, first 2 shown]
	v_pk_add_f32 v[62:63], v[34:35], v[66:67] neg_lo:[0,1] neg_hi:[0,1]
	v_pk_fma_f32 v[56:57], v[56:57], 0.5, v[36:37] op_sel_hi:[1,0,1] neg_lo:[1,0,0] neg_hi:[1,0,0]
	v_pk_add_f32 v[40:41], v[40:41], v[66:67]
	v_pk_fma_f32 v[36:37], v[76:77], 0.5, v[36:37] op_sel_hi:[1,0,1] neg_lo:[1,0,0] neg_hi:[1,0,0]
	v_pk_add_f32 v[60:61], v[64:65], v[54:55] neg_lo:[0,1] neg_hi:[0,1]
	v_pk_add_f32 v[68:69], v[64:65], v[34:35] neg_lo:[0,1] neg_hi:[0,1]
	v_pk_add_f32 v[70:71], v[54:55], v[66:67] neg_lo:[0,1] neg_hi:[0,1]
	v_pk_add_f32 v[34:35], v[34:35], v[64:65] neg_lo:[0,1] neg_hi:[0,1]
	v_pk_add_f32 v[64:65], v[66:67], v[54:55] neg_lo:[0,1] neg_hi:[0,1]
	v_pk_add_f32 v[40:41], v[40:41], v[54:55]
	v_pk_fma_f32 v[54:55], v[62:63], s[14:15], v[36:37] op_sel:[1,0,0] op_sel_hi:[0,0,1] neg_lo:[1,0,0] neg_hi:[1,0,0]
	v_pk_fma_f32 v[36:37], v[62:63], s[14:15], v[36:37] op_sel:[1,0,0] op_sel_hi:[0,0,1]
	v_pk_add_f32 v[34:35], v[34:35], v[64:65]
	v_pk_fma_f32 v[64:65], v[60:61], s[14:15], v[56:57] op_sel:[1,0,0] op_sel_hi:[0,0,1]
	v_pk_fma_f32 v[56:57], v[60:61], s[14:15], v[56:57] op_sel:[1,0,0] op_sel_hi:[0,0,1] neg_lo:[1,0,0] neg_hi:[1,0,0]
	v_pk_fma_f32 v[36:37], v[60:61], s[10:11], v[36:37] op_sel:[1,0,0] op_sel_hi:[0,0,1] neg_lo:[1,0,0] neg_hi:[1,0,0]
	v_pk_fma_f32 v[54:55], v[60:61], s[10:11], v[54:55] op_sel:[1,0,0] op_sel_hi:[0,0,1]
	v_pk_fma_f32 v[56:57], v[62:63], s[10:11], v[56:57] op_sel:[1,0,0] op_sel_hi:[0,0,1] neg_lo:[1,0,0] neg_hi:[1,0,0]
	v_pk_fma_f32 v[62:63], v[62:63], s[10:11], v[64:65] op_sel:[1,0,0] op_sel_hi:[0,0,1]
	v_mov_b32_e32 v64, v54
	v_mov_b32_e32 v65, v37
	;; [unrolled: 1-line block ×3, first 2 shown]
	v_pk_fma_f32 v[78:79], v[34:35], s[8:9], v[64:65] op_sel_hi:[1,0,1]
	v_pk_fma_f32 v[80:81], v[34:35], s[8:9], v[36:37] op_sel_hi:[1,0,1]
	v_and_b32_e32 v34, 0xff, v47
	v_lshl_add_u32 v249, v34, 3, v221
	v_and_b32_e32 v34, 0xff, v51
	v_lshl_add_u32 v169, v34, 3, v221
	ds_read2_b64 v[34:37], v220 offset0:104 offset1:117
	v_pk_add_f32 v[68:69], v[68:69], v[70:71]
	v_mov_b32_e32 v60, v62
	v_mov_b32_e32 v61, v57
	;; [unrolled: 1-line block ×3, first 2 shown]
	s_waitcnt vmcnt(4) lgkmcnt(0)
	v_pk_mul_f32 v[62:63], v[36:37], v[28:29] op_sel:[0,1]
	v_pk_fma_f32 v[76:77], v[68:69], s[8:9], v[60:61] op_sel_hi:[1,0,1]
	v_pk_fma_f32 v[82:83], v[68:69], s[8:9], v[56:57] op_sel_hi:[1,0,1]
	ds_read2_b64 v[54:57], v220 offset0:234 offset1:247
	ds_read_b64 v[60:61], v220 offset:2496
	v_pk_fma_f32 v[84:85], v[36:37], v[28:29], v[62:63] op_sel:[0,0,1] op_sel_hi:[1,1,0] neg_lo:[0,0,1] neg_hi:[0,0,1]
	v_pk_fma_f32 v[36:37], v[36:37], v[28:29], v[62:63] op_sel:[0,0,1] op_sel_hi:[1,0,0]
	v_lshlrev_b32_e32 v51, 5, v44
	v_mov_b32_e32 v36, v31
	v_mov_b32_e32 v85, v37
	v_pk_mul_f32 v[36:37], v[52:53], v[36:37] op_sel_hi:[1,0]
	s_nop 0
	v_pk_fma_f32 v[86:87], v[52:53], v[30:31], v[36:37] op_sel:[0,0,1] op_sel_hi:[1,1,0] neg_lo:[0,0,1] neg_hi:[0,0,1]
	v_pk_fma_f32 v[36:37], v[52:53], v[30:31], v[36:37] op_sel:[0,0,1] op_sel_hi:[1,0,0]
	s_nop 0
	v_mov_b32_e32 v87, v37
	s_waitcnt lgkmcnt(1)
	v_pk_mul_f32 v[36:37], v[56:57], v[20:21] op_sel:[0,1]
	s_nop 0
	v_pk_fma_f32 v[88:89], v[56:57], v[20:21], v[36:37] op_sel:[0,0,1] op_sel_hi:[1,1,0] neg_lo:[0,0,1] neg_hi:[0,0,1]
	v_pk_fma_f32 v[36:37], v[56:57], v[20:21], v[36:37] op_sel:[0,0,1] op_sel_hi:[1,0,0]
	s_nop 0
	v_mov_b32_e32 v36, v23
	v_mov_b32_e32 v89, v37
	s_waitcnt lgkmcnt(0)
	v_pk_mul_f32 v[36:37], v[60:61], v[36:37] op_sel_hi:[1,0]
	s_nop 0
	v_pk_fma_f32 v[56:57], v[60:61], v[22:23], v[36:37] op_sel:[0,0,1] op_sel_hi:[1,1,0] neg_lo:[0,0,1] neg_hi:[0,0,1]
	v_pk_fma_f32 v[36:37], v[60:61], v[22:23], v[36:37] op_sel:[0,0,1] op_sel_hi:[1,0,0]
	ds_read2_b64 v[60:63], v220 offset0:26 offset1:39
	ds_read2_b64 v[64:67], v220 offset0:156 offset1:169
	;; [unrolled: 1-line block ×3, first 2 shown]
	v_mov_b32_e32 v57, v37
	v_pk_add_f32 v[36:37], v[32:33], v[84:85]
	s_nop 0
	v_pk_add_f32 v[36:37], v[36:37], v[86:87]
	s_nop 0
	;; [unrolled: 2-line block ×3, first 2 shown]
	v_pk_add_f32 v[90:91], v[36:37], v[56:57]
	s_waitcnt vmcnt(0)
	v_pk_mul_f32 v[36:37], v[34:35], v[24:25] op_sel:[0,1]
	s_nop 0
	v_pk_fma_f32 v[92:93], v[34:35], v[24:25], v[36:37] op_sel:[0,0,1] op_sel_hi:[1,1,0] neg_lo:[0,0,1] neg_hi:[0,0,1]
	v_pk_fma_f32 v[34:35], v[34:35], v[24:25], v[36:37] op_sel:[0,0,1] op_sel_hi:[1,0,0]
	s_nop 0
	v_mov_b32_e32 v34, v27
	v_mov_b32_e32 v93, v35
	s_waitcnt lgkmcnt(1)
	v_pk_mul_f32 v[34:35], v[66:67], v[34:35] op_sel_hi:[1,0]
	s_nop 0
	v_pk_fma_f32 v[94:95], v[66:67], v[26:27], v[34:35] op_sel:[0,0,1] op_sel_hi:[1,1,0] neg_lo:[0,0,1] neg_hi:[0,0,1]
	v_pk_fma_f32 v[34:35], v[66:67], v[26:27], v[34:35] op_sel:[0,0,1] op_sel_hi:[1,0,0]
	s_nop 0
	v_mov_b32_e32 v95, v35
	v_pk_mul_f32 v[34:35], v[54:55], v[16:17] op_sel:[0,1]
	v_pk_add_f32 v[36:37], v[92:93], v[94:95] neg_lo:[0,1] neg_hi:[0,1]
	v_pk_fma_f32 v[66:67], v[54:55], v[16:17], v[34:35] op_sel:[0,0,1] op_sel_hi:[1,1,0] neg_lo:[0,0,1] neg_hi:[0,0,1]
	v_pk_fma_f32 v[34:35], v[54:55], v[16:17], v[34:35] op_sel:[0,0,1] op_sel_hi:[1,0,0]
	s_nop 0
	v_mov_b32_e32 v34, v19
	v_mov_b32_e32 v67, v35
	s_waitcnt lgkmcnt(0)
	v_pk_mul_f32 v[34:35], v[70:71], v[34:35] op_sel_hi:[1,0]
	v_pk_add_f32 v[100:101], v[94:95], v[66:67] neg_lo:[0,1] neg_hi:[0,1]
	v_pk_fma_f32 v[96:97], v[70:71], v[18:19], v[34:35] op_sel:[0,0,1] op_sel_hi:[1,1,0] neg_lo:[0,0,1] neg_hi:[0,0,1]
	v_pk_fma_f32 v[34:35], v[70:71], v[18:19], v[34:35] op_sel:[0,0,1] op_sel_hi:[1,0,0]
	s_nop 0
	v_mov_b32_e32 v97, v35
	v_pk_add_f32 v[34:35], v[94:95], v[66:67]
	v_pk_add_f32 v[70:71], v[92:93], v[96:97] neg_lo:[0,1] neg_hi:[0,1]
	v_pk_fma_f32 v[34:35], v[34:35], 0.5, v[62:63] op_sel_hi:[1,0,1] neg_lo:[1,0,0] neg_hi:[1,0,0]
	v_pk_add_f32 v[52:53], v[96:97], v[66:67] neg_lo:[0,1] neg_hi:[0,1]
	s_nop 0
	v_pk_add_f32 v[102:103], v[36:37], v[52:53]
	v_pk_fma_f32 v[36:37], v[70:71], s[14:15], v[34:35] op_sel:[1,0,0] op_sel_hi:[0,0,1] neg_lo:[1,0,0] neg_hi:[1,0,0]
	v_pk_fma_f32 v[34:35], v[70:71], s[14:15], v[34:35] op_sel:[1,0,0] op_sel_hi:[0,0,1]
	v_pk_fma_f32 v[104:105], v[100:101], s[10:11], v[34:35] op_sel:[1,0,0] op_sel_hi:[0,0,1]
	v_pk_fma_f32 v[106:107], v[100:101], s[10:11], v[36:37] op_sel:[1,0,0] op_sel_hi:[0,0,1] neg_lo:[1,0,0] neg_hi:[1,0,0]
	ds_read2_b64 v[34:37], v220 offset0:78 offset1:91
	v_mov_b32_e32 v52, v106
	v_mov_b32_e32 v53, v105
	v_pk_fma_f32 v[108:109], v[102:103], s[8:9], v[52:53] op_sel_hi:[1,0,1]
	ds_read2_b64 v[52:55], v220 offset0:208 offset1:221
	s_waitcnt lgkmcnt(1)
	v_pk_mul_f32 v[122:123], v[34:35], v[4:5] op_sel:[0,1]
	v_pk_mul_f32 v[110:111], v[36:37], v[12:13] op_sel:[0,1]
	v_pk_fma_f32 v[124:125], v[34:35], v[4:5], v[122:123] op_sel:[0,0,1] op_sel_hi:[1,1,0] neg_lo:[0,0,1] neg_hi:[0,0,1]
	v_pk_fma_f32 v[34:35], v[34:35], v[4:5], v[122:123] op_sel:[0,0,1] op_sel_hi:[1,0,0]
	v_pk_fma_f32 v[112:113], v[36:37], v[12:13], v[110:111] op_sel:[0,0,1] op_sel_hi:[1,1,0] neg_lo:[0,0,1] neg_hi:[0,0,1]
	v_mov_b32_e32 v125, v35
	v_pk_mul_f32 v[34:35], v[42:43], v[72:73] op_sel_hi:[1,0]
	v_pk_fma_f32 v[36:37], v[36:37], v[12:13], v[110:111] op_sel:[0,0,1] op_sel_hi:[1,0,0]
	v_pk_fma_f32 v[72:73], v[42:43], v[6:7], v[34:35] op_sel:[0,0,1] op_sel_hi:[1,1,0] neg_lo:[0,0,1] neg_hi:[0,0,1]
	v_pk_fma_f32 v[34:35], v[42:43], v[6:7], v[34:35] op_sel:[0,0,1] op_sel_hi:[1,0,0]
	v_mov_b32_e32 v36, v15
	v_mov_b32_e32 v73, v35
	s_waitcnt lgkmcnt(0)
	v_pk_mul_f32 v[34:35], v[52:53], v[0:1] op_sel:[0,1]
	s_nop 0
	v_pk_fma_f32 v[42:43], v[52:53], v[0:1], v[34:35] op_sel:[0,0,1] op_sel_hi:[1,1,0] neg_lo:[0,0,1] neg_hi:[0,0,1]
	v_pk_fma_f32 v[34:35], v[52:53], v[0:1], v[34:35] op_sel:[0,0,1] op_sel_hi:[1,0,0]
	; wave barrier
	s_nop 0
	v_mov_b32_e32 v43, v35
	v_pk_mul_f32 v[34:35], v[58:59], v[74:75] op_sel_hi:[1,0]
	ds_write2_b64 v220, v[40:41], v[76:77] offset1:13
	ds_write2_b64 v220, v[78:79], v[80:81] offset0:26 offset1:39
	v_pk_add_f32 v[40:41], v[38:39], v[124:125]
	v_mov_b32_e32 v113, v37
	v_pk_mul_f32 v[36:37], v[64:65], v[36:37] op_sel_hi:[1,0]
	v_pk_fma_f32 v[52:53], v[58:59], v[2:3], v[34:35] op_sel:[0,0,1] op_sel_hi:[1,1,0] neg_lo:[0,0,1] neg_hi:[0,0,1]
	v_pk_fma_f32 v[34:35], v[58:59], v[2:3], v[34:35] op_sel:[0,0,1] op_sel_hi:[1,0,0]
	v_pk_add_f32 v[40:41], v[40:41], v[72:73]
	v_pk_fma_f32 v[110:111], v[64:65], v[14:15], v[36:37] op_sel:[0,0,1] op_sel_hi:[1,1,0] neg_lo:[0,0,1] neg_hi:[0,0,1]
	v_pk_fma_f32 v[36:37], v[64:65], v[14:15], v[36:37] op_sel:[0,0,1] op_sel_hi:[1,0,0]
	v_mov_b32_e32 v53, v35
	v_pk_add_f32 v[40:41], v[40:41], v[42:43]
	v_mov_b32_e32 v111, v37
	v_pk_mul_f32 v[36:37], v[54:55], v[8:9] op_sel:[0,1]
	v_pk_add_f32 v[40:41], v[40:41], v[52:53]
	v_pk_fma_f32 v[64:65], v[54:55], v[8:9], v[36:37] op_sel:[0,0,1] op_sel_hi:[1,1,0] neg_lo:[0,0,1] neg_hi:[0,0,1]
	v_pk_fma_f32 v[36:37], v[54:55], v[8:9], v[36:37] op_sel:[0,0,1] op_sel_hi:[1,0,0]
	v_pk_add_f32 v[34:35], v[72:73], v[42:43]
	ds_write2_b64 v220, v[82:83], v[40:41] offset0:52 offset1:65
	v_pk_add_f32 v[40:41], v[124:125], v[52:53]
	v_mov_b32_e32 v36, v11
	v_pk_fma_f32 v[34:35], v[34:35], 0.5, v[38:39] op_sel_hi:[1,0,1] neg_lo:[1,0,0] neg_hi:[1,0,0]
	v_pk_add_f32 v[58:59], v[124:125], v[52:53] neg_lo:[0,1] neg_hi:[0,1]
	v_pk_add_f32 v[74:75], v[72:73], v[42:43] neg_lo:[0,1] neg_hi:[0,1]
	v_pk_add_f32 v[122:123], v[124:125], v[72:73] neg_lo:[0,1] neg_hi:[0,1]
	v_pk_add_f32 v[126:127], v[52:53], v[42:43] neg_lo:[0,1] neg_hi:[0,1]
	v_pk_fma_f32 v[38:39], v[40:41], 0.5, v[38:39] op_sel_hi:[1,0,1] neg_lo:[1,0,0] neg_hi:[1,0,0]
	v_pk_add_f32 v[40:41], v[72:73], v[124:125] neg_lo:[0,1] neg_hi:[0,1]
	v_pk_add_f32 v[42:43], v[42:43], v[52:53] neg_lo:[0,1] neg_hi:[0,1]
	v_mov_b32_e32 v65, v37
	v_pk_mul_f32 v[36:37], v[68:69], v[36:37] op_sel_hi:[1,0]
	v_pk_add_f32 v[122:123], v[122:123], v[126:127]
	v_pk_fma_f32 v[126:127], v[58:59], s[14:15], v[34:35] op_sel:[1,0,0] op_sel_hi:[0,0,1] neg_lo:[1,0,0] neg_hi:[1,0,0]
	v_pk_fma_f32 v[34:35], v[58:59], s[14:15], v[34:35] op_sel:[1,0,0] op_sel_hi:[0,0,1]
	v_pk_add_f32 v[40:41], v[40:41], v[42:43]
	v_pk_fma_f32 v[42:43], v[74:75], s[14:15], v[38:39] op_sel:[1,0,0] op_sel_hi:[0,0,1]
	v_pk_fma_f32 v[38:39], v[74:75], s[14:15], v[38:39] op_sel:[1,0,0] op_sel_hi:[0,0,1] neg_lo:[1,0,0] neg_hi:[1,0,0]
	v_pk_fma_f32 v[54:55], v[68:69], v[10:11], v[36:37] op_sel:[0,0,1] op_sel_hi:[1,1,0] neg_lo:[0,0,1] neg_hi:[0,0,1]
	v_pk_fma_f32 v[36:37], v[68:69], v[10:11], v[36:37] op_sel:[0,0,1] op_sel_hi:[1,0,0]
	v_pk_fma_f32 v[34:35], v[74:75], s[10:11], v[34:35] op_sel:[1,0,0] op_sel_hi:[0,0,1]
	v_pk_fma_f32 v[126:127], v[74:75], s[10:11], v[126:127] op_sel:[1,0,0] op_sel_hi:[0,0,1] neg_lo:[1,0,0] neg_hi:[1,0,0]
	v_pk_fma_f32 v[38:39], v[58:59], s[10:11], v[38:39] op_sel:[1,0,0] op_sel_hi:[0,0,1]
	v_pk_fma_f32 v[42:43], v[58:59], s[10:11], v[42:43] op_sel:[1,0,0] op_sel_hi:[0,0,1] neg_lo:[1,0,0] neg_hi:[1,0,0]
	v_mov_b32_e32 v55, v37
	v_pk_add_f32 v[36:37], v[110:111], v[64:65]
	v_mov_b32_e32 v129, v35
	v_mov_b32_e32 v35, v127
	;; [unrolled: 1-line block ×4, first 2 shown]
	v_pk_fma_f32 v[36:37], v[36:37], 0.5, v[60:61] op_sel_hi:[1,0,1] neg_lo:[1,0,0] neg_hi:[1,0,0]
	v_pk_add_f32 v[68:69], v[112:113], v[54:55] neg_lo:[0,1] neg_hi:[0,1]
	v_pk_add_f32 v[116:117], v[112:113], v[110:111] neg_lo:[0,1] neg_hi:[0,1]
	;; [unrolled: 1-line block ×3, first 2 shown]
	v_mov_b32_e32 v128, v126
	v_pk_fma_f32 v[34:35], v[122:123], s[8:9], v[34:35] op_sel_hi:[1,0,1]
	v_mov_b32_e32 v52, v42
	v_pk_fma_f32 v[38:39], v[40:41], s[8:9], v[38:39] op_sel_hi:[1,0,1]
	v_pk_add_f32 v[114:115], v[110:111], v[64:65] neg_lo:[0,1] neg_hi:[0,1]
	v_pk_add_f32 v[116:117], v[116:117], v[118:119]
	v_pk_fma_f32 v[118:119], v[68:69], s[14:15], v[36:37] op_sel:[1,0,0] op_sel_hi:[0,0,1] neg_lo:[1,0,0] neg_hi:[1,0,0]
	v_pk_fma_f32 v[36:37], v[68:69], s[14:15], v[36:37] op_sel:[1,0,0] op_sel_hi:[0,0,1]
	v_pk_fma_f32 v[128:129], v[122:123], s[8:9], v[128:129] op_sel_hi:[1,0,1]
	v_pk_fma_f32 v[52:53], v[40:41], s[8:9], v[52:53] op_sel_hi:[1,0,1]
	ds_write2_b64 v220, v[34:35], v[38:39] offset0:78 offset1:91
	ds_write2_b64 v220, v[52:53], v[128:129] offset0:104 offset1:117
	v_pk_add_f32 v[34:35], v[60:61], v[112:113]
	v_pk_fma_f32 v[36:37], v[114:115], s[10:11], v[36:37] op_sel:[1,0,0] op_sel_hi:[0,0,1]
	v_pk_fma_f32 v[118:119], v[114:115], s[10:11], v[118:119] op_sel:[1,0,0] op_sel_hi:[0,0,1] neg_lo:[1,0,0] neg_hi:[1,0,0]
	v_pk_add_f32 v[34:35], v[34:35], v[110:111]
	v_mov_b32_e32 v121, v37
	v_pk_add_f32 v[34:35], v[34:35], v[64:65]
	v_mov_b32_e32 v37, v119
	v_pk_add_f32 v[34:35], v[34:35], v[54:55]
	v_pk_fma_f32 v[36:37], v[116:117], s[8:9], v[36:37] op_sel_hi:[1,0,1]
	ds_write2_b64 v249, v[34:35], v[36:37] offset0:130 offset1:143
	v_pk_add_f32 v[34:35], v[112:113], v[54:55]
	v_pk_add_f32 v[36:37], v[110:111], v[112:113] neg_lo:[0,1] neg_hi:[0,1]
	v_pk_fma_f32 v[34:35], v[34:35], 0.5, v[60:61] op_sel_hi:[1,0,1] neg_lo:[1,0,0] neg_hi:[1,0,0]
	v_pk_add_f32 v[38:39], v[64:65], v[54:55] neg_lo:[0,1] neg_hi:[0,1]
	v_mov_b32_e32 v120, v118
	v_pk_add_f32 v[36:37], v[36:37], v[38:39]
	v_pk_fma_f32 v[38:39], v[114:115], s[14:15], v[34:35] op_sel:[1,0,0] op_sel_hi:[0,0,1]
	v_pk_fma_f32 v[34:35], v[114:115], s[14:15], v[34:35] op_sel:[1,0,0] op_sel_hi:[0,0,1] neg_lo:[1,0,0] neg_hi:[1,0,0]
	v_pk_fma_f32 v[34:35], v[68:69], s[10:11], v[34:35] op_sel:[1,0,0] op_sel_hi:[0,0,1]
	v_pk_fma_f32 v[38:39], v[68:69], s[10:11], v[38:39] op_sel:[1,0,0] op_sel_hi:[0,0,1] neg_lo:[1,0,0] neg_hi:[1,0,0]
	v_mov_b32_e32 v40, v38
	v_mov_b32_e32 v41, v35
	;; [unrolled: 1-line block ×3, first 2 shown]
	v_pk_fma_f32 v[40:41], v[36:37], s[8:9], v[40:41] op_sel_hi:[1,0,1]
	v_pk_fma_f32 v[34:35], v[36:37], s[8:9], v[34:35] op_sel_hi:[1,0,1]
	;; [unrolled: 1-line block ×3, first 2 shown]
	ds_write2_b64 v249, v[34:35], v[40:41] offset0:156 offset1:169
	ds_write_b64 v249, v[120:121] offset:1456
	v_pk_add_f32 v[34:35], v[62:63], v[92:93]
	v_mov_b32_e32 v105, v107
	v_pk_add_f32 v[34:35], v[34:35], v[94:95]
	v_pk_fma_f32 v[36:37], v[102:103], s[8:9], v[104:105] op_sel_hi:[1,0,1]
	v_pk_add_f32 v[34:35], v[34:35], v[66:67]
	v_pk_add_f32 v[38:39], v[66:67], v[96:97] neg_lo:[0,1] neg_hi:[0,1]
	v_pk_add_f32 v[34:35], v[34:35], v[96:97]
	ds_write2_b64 v169, v[34:35], v[36:37] offset0:195 offset1:208
	v_pk_add_f32 v[34:35], v[92:93], v[96:97]
	v_pk_add_f32 v[36:37], v[94:95], v[92:93] neg_lo:[0,1] neg_hi:[0,1]
	v_pk_fma_f32 v[34:35], v[34:35], 0.5, v[62:63] op_sel_hi:[1,0,1] neg_lo:[1,0,0] neg_hi:[1,0,0]
	v_pk_add_f32 v[36:37], v[36:37], v[38:39]
	v_pk_fma_f32 v[38:39], v[100:101], s[14:15], v[34:35] op_sel:[1,0,0] op_sel_hi:[0,0,1]
	v_pk_fma_f32 v[34:35], v[100:101], s[14:15], v[34:35] op_sel:[1,0,0] op_sel_hi:[0,0,1] neg_lo:[1,0,0] neg_hi:[1,0,0]
	v_pk_fma_f32 v[34:35], v[70:71], s[10:11], v[34:35] op_sel:[1,0,0] op_sel_hi:[0,0,1]
	v_pk_fma_f32 v[38:39], v[70:71], s[10:11], v[38:39] op_sel:[1,0,0] op_sel_hi:[0,0,1] neg_lo:[1,0,0] neg_hi:[1,0,0]
	v_mov_b32_e32 v40, v38
	v_mov_b32_e32 v41, v35
	;; [unrolled: 1-line block ×3, first 2 shown]
	v_pk_fma_f32 v[40:41], v[36:37], s[8:9], v[40:41] op_sel_hi:[1,0,1]
	v_pk_fma_f32 v[34:35], v[36:37], s[8:9], v[34:35] op_sel_hi:[1,0,1]
	ds_write2_b64 v169, v[34:35], v[40:41] offset0:221 offset1:234
	ds_write_b64 v169, v[108:109] offset:1976
	v_pk_add_f32 v[34:35], v[86:87], v[88:89]
	v_pk_add_f32 v[36:37], v[84:85], v[56:57] neg_lo:[0,1] neg_hi:[0,1]
	v_pk_fma_f32 v[34:35], v[34:35], 0.5, v[32:33] op_sel_hi:[1,0,1] neg_lo:[1,0,0] neg_hi:[1,0,0]
	v_pk_mul_f32 v[38:39], v[36:37], s[14:15] op_sel_hi:[1,0]
	v_pk_add_f32 v[40:41], v[86:87], v[88:89] neg_lo:[0,1] neg_hi:[0,1]
	v_pk_add_f32 v[52:53], v[84:85], v[86:87] neg_lo:[0,1] neg_hi:[0,1]
	;; [unrolled: 1-line block ×3, first 2 shown]
	v_pk_mul_f32 v[42:43], v[40:41], s[10:11] op_sel_hi:[1,0]
	v_pk_add_f32 v[52:53], v[52:53], v[54:55]
	v_pk_add_f32 v[54:55], v[34:35], v[38:39] op_sel:[0,1] op_sel_hi:[1,0]
	v_pk_add_f32 v[34:35], v[34:35], v[38:39] op_sel:[0,1] op_sel_hi:[1,0] neg_lo:[0,1] neg_hi:[0,1]
	v_pk_add_f32 v[38:39], v[54:55], v[42:43] op_sel:[0,1] op_sel_hi:[1,0]
	v_pk_add_f32 v[34:35], v[34:35], v[42:43] op_sel:[0,1] op_sel_hi:[1,0] neg_lo:[0,1] neg_hi:[0,1]
	v_mov_b32_e32 v42, v38
	v_mov_b32_e32 v43, v35
	v_pk_fma_f32 v[42:43], v[52:53], s[8:9], v[42:43] op_sel_hi:[1,0,1]
	v_add_u32_e32 v35, 0x800, v168
	ds_write2_b64 v35, v[90:91], v[42:43] offset0:4 offset1:17
	v_pk_add_f32 v[42:43], v[84:85], v[56:57]
	v_pk_add_f32 v[54:55], v[88:89], v[56:57] neg_lo:[0,1] neg_hi:[0,1]
	v_pk_fma_f32 v[32:33], v[42:43], 0.5, v[32:33] op_sel_hi:[1,0,1] neg_lo:[1,0,0] neg_hi:[1,0,0]
	v_pk_add_f32 v[42:43], v[86:87], v[84:85] neg_lo:[0,1] neg_hi:[0,1]
	v_pk_mul_f32 v[40:41], v[40:41], s[14:15] op_sel_hi:[1,0]
	v_pk_add_f32 v[42:43], v[42:43], v[54:55]
	v_pk_mul_f32 v[36:37], v[36:37], s[10:11] op_sel_hi:[1,0]
	v_pk_add_f32 v[54:55], v[32:33], v[40:41] op_sel:[0,1] op_sel_hi:[1,0] neg_lo:[0,1] neg_hi:[0,1]
	v_pk_add_f32 v[32:33], v[32:33], v[40:41] op_sel:[0,1] op_sel_hi:[1,0]
	v_lshlrev_b32_e32 v72, 5, v50
	v_pk_add_f32 v[32:33], v[32:33], v[36:37] op_sel:[0,1] op_sel_hi:[1,0] neg_lo:[0,1] neg_hi:[0,1]
	v_pk_add_f32 v[36:37], v[54:55], v[36:37] op_sel:[0,1] op_sel_hi:[1,0]
	v_mov_b32_e32 v41, v33
	v_mov_b32_e32 v40, v36
	;; [unrolled: 1-line block ×3, first 2 shown]
	v_pk_fma_f32 v[40:41], v[42:43], s[8:9], v[40:41] op_sel_hi:[1,0,1]
	v_pk_fma_f32 v[32:33], v[42:43], s[8:9], v[32:33] op_sel_hi:[1,0,1]
	ds_write2_b64 v35, v[40:41], v[32:33] offset0:30 offset1:43
	v_mov_b32_e32 v35, v39
	v_pk_fma_f32 v[32:33], v[52:53], s[8:9], v[34:35] op_sel_hi:[1,0,1]
	ds_write_b64 v168, v[32:33] offset:2496
	v_lshlrev_b32_e32 v32, 5, v46
	s_waitcnt lgkmcnt(0)
	; wave barrier
	s_waitcnt lgkmcnt(0)
	global_load_dwordx4 v[36:39], v32, s[0:1] offset:416
	s_nop 0
	global_load_dwordx4 v[32:35], v32, s[0:1] offset:432
	s_nop 0
	global_load_dwordx4 v[44:47], v51, s[0:1] offset:416
	global_load_dwordx4 v[40:43], v51, s[0:1] offset:432
	;; [unrolled: 1-line block ×6, first 2 shown]
	s_nop 0
	global_load_dwordx4 v[48:51], v72, s[0:1] offset:432
	global_load_dwordx4 v[52:55], v72, s[0:1] offset:416
	ds_read2_b64 v[76:79], v220 offset0:104 offset1:117
	ds_read2_b64 v[100:103], v220 offset0:52 offset1:65
	;; [unrolled: 1-line block ×4, first 2 shown]
	ds_read_b64 v[72:73], v220 offset:2496
	s_waitcnt vmcnt(9) lgkmcnt(4)
	v_pk_mul_f32 v[74:75], v[78:79], v[36:37] op_sel:[0,1]
	s_nop 0
	v_pk_fma_f32 v[90:91], v[78:79], v[36:37], v[74:75] op_sel:[0,0,1] op_sel_hi:[1,1,0] neg_lo:[0,0,1] neg_hi:[0,0,1]
	v_pk_fma_f32 v[74:75], v[78:79], v[36:37], v[74:75] op_sel:[0,0,1] op_sel_hi:[1,0,0]
	s_waitcnt vmcnt(7)
	v_pk_mul_f32 v[78:79], v[76:77], v[44:45] op_sel_hi:[1,0]
	v_mov_b32_e32 v74, v39
	v_mov_b32_e32 v91, v75
	s_waitcnt lgkmcnt(2)
	v_pk_mul_f32 v[74:75], v[94:95], v[74:75] op_sel_hi:[1,0]
	s_nop 0
	v_pk_fma_f32 v[92:93], v[94:95], v[38:39], v[74:75] op_sel:[0,0,1] op_sel_hi:[1,1,0] neg_lo:[0,0,1] neg_hi:[0,0,1]
	v_pk_fma_f32 v[74:75], v[94:95], v[38:39], v[74:75] op_sel:[0,0,1] op_sel_hi:[1,0,0]
	s_nop 0
	v_mov_b32_e32 v93, v75
	s_waitcnt lgkmcnt(1)
	v_pk_mul_f32 v[74:75], v[82:83], v[32:33] op_sel:[0,1]
	s_nop 0
	v_pk_fma_f32 v[112:113], v[82:83], v[32:33], v[74:75] op_sel:[0,0,1] op_sel_hi:[1,1,0] neg_lo:[0,0,1] neg_hi:[0,0,1]
	v_pk_fma_f32 v[74:75], v[82:83], v[32:33], v[74:75] op_sel:[0,0,1] op_sel_hi:[1,0,0]
	v_mov_b32_e32 v82, v45
	v_mov_b32_e32 v74, v35
	;; [unrolled: 1-line block ×3, first 2 shown]
	s_waitcnt lgkmcnt(0)
	v_pk_mul_f32 v[74:75], v[72:73], v[74:75] op_sel_hi:[1,0]
	v_pk_fma_f32 v[82:83], v[76:77], v[82:83], v[78:79] op_sel:[0,0,1] op_sel_hi:[1,1,0]
	v_pk_fma_f32 v[114:115], v[72:73], v[34:35], v[74:75] op_sel:[0,0,1] op_sel_hi:[1,1,0] neg_lo:[0,0,1] neg_hi:[0,0,1]
	v_pk_fma_f32 v[72:73], v[72:73], v[34:35], v[74:75] op_sel:[0,0,1] op_sel_hi:[1,0,0]
	v_pk_fma_f32 v[76:77], v[76:77], v[44:45], v[78:79] op_sel:[0,1,1] op_sel_hi:[1,1,0] neg_lo:[1,0,0] neg_hi:[1,0,0]
	v_mov_b32_e32 v115, v73
	ds_read2_b64 v[72:75], v220 offset0:26 offset1:39
	ds_read2_b64 v[104:107], v220 offset0:156 offset1:169
	;; [unrolled: 1-line block ×3, first 2 shown]
	v_mov_b32_e32 v76, v47
	v_mov_b32_e32 v83, v77
	s_waitcnt lgkmcnt(1)
	v_pk_mul_f32 v[78:79], v[106:107], v[76:77] op_sel_hi:[1,0]
	s_nop 0
	v_pk_fma_f32 v[84:85], v[106:107], v[46:47], v[78:79] op_sel:[0,0,1] op_sel_hi:[1,1,0] neg_lo:[0,0,1] neg_hi:[0,0,1]
	v_pk_fma_f32 v[78:79], v[106:107], v[46:47], v[78:79] op_sel:[0,0,1] op_sel_hi:[1,0,0]
	s_waitcnt vmcnt(6)
	v_mov_b32_e32 v76, v43
	v_mov_b32_e32 v85, v79
	v_pk_mul_f32 v[78:79], v[80:81], v[40:41] op_sel:[0,1]
	s_nop 0
	v_pk_fma_f32 v[86:87], v[80:81], v[40:41], v[78:79] op_sel:[0,0,1] op_sel_hi:[1,1,0] neg_lo:[0,0,1] neg_hi:[0,0,1]
	v_pk_fma_f32 v[78:79], v[80:81], v[40:41], v[78:79] op_sel:[0,0,1] op_sel_hi:[1,0,0]
	v_mov_b32_e32 v80, v43
	v_mov_b32_e32 v87, v79
	s_waitcnt lgkmcnt(0)
	v_pk_mul_f32 v[78:79], v[110:111], v[42:43] op_sel_hi:[1,0]
	s_nop 0
	v_pk_fma_f32 v[88:89], v[110:111], v[76:77], v[78:79] op_sel:[0,0,1] op_sel_hi:[1,1,0]
	v_pk_fma_f32 v[78:79], v[110:111], v[80:81], v[78:79] op_sel:[0,0,1] op_sel_hi:[1,0,0] neg_lo:[1,0,0] neg_hi:[1,0,0]
	v_mov_b32_e32 v80, v77
	v_mov_b32_e32 v81, v82
	v_pk_add_f32 v[76:77], v[84:85], v[86:87]
	v_mov_b32_e32 v89, v79
	v_pk_fma_f32 v[94:95], v[76:77], 0.5, v[74:75] op_sel_hi:[1,0,1] neg_lo:[1,0,0] neg_hi:[1,0,0]
	v_pk_add_f32 v[76:77], v[74:75], v[80:81]
	v_mov_b32_e32 v78, v79
	v_pk_add_f32 v[76:77], v[76:77], v[84:85]
	v_mov_b32_e32 v79, v88
	v_pk_add_f32 v[76:77], v[76:77], v[86:87]
	v_pk_add_f32 v[116:117], v[80:81], v[84:85] neg_lo:[0,1] neg_hi:[0,1]
	v_pk_add_f32 v[76:77], v[76:77], v[78:79]
	v_pk_add_f32 v[118:119], v[78:79], v[86:87] neg_lo:[0,1] neg_hi:[0,1]
	v_pk_add_f32 v[80:81], v[84:85], v[80:81] neg_lo:[0,1] neg_hi:[0,1]
	;; [unrolled: 1-line block ×4, first 2 shown]
	v_pk_add_f32 v[120:121], v[80:81], v[78:79]
	v_pk_add_f32 v[80:81], v[82:83], v[88:89]
	v_pk_add_f32 v[78:79], v[84:85], v[86:87] neg_lo:[0,1] neg_hi:[0,1]
	v_pk_mul_f32 v[80:81], v[80:81], 0.5 op_sel_hi:[1,0]
	v_pk_fma_f32 v[110:111], v[106:107], s[14:15], v[94:95] op_sel_hi:[1,0,1] neg_lo:[1,0,0] neg_hi:[1,0,0]
	v_pk_add_f32 v[74:75], v[74:75], v[80:81] op_sel:[0,1] op_sel_hi:[1,0] neg_lo:[0,1] neg_hi:[0,1]
	v_pk_mul_f32 v[80:81], v[78:79], s[14:15] op_sel_hi:[1,0]
	v_pk_fma_f32 v[94:95], v[106:107], s[14:15], v[94:95] op_sel_hi:[1,0,1]
	v_pk_add_f32 v[82:83], v[74:75], v[80:81] op_sel:[0,1] op_sel_hi:[1,0] neg_lo:[0,1] neg_hi:[0,1]
	v_pk_add_f32 v[74:75], v[80:81], v[74:75] op_sel:[1,0] op_sel_hi:[0,1]
	v_pk_fma_f32 v[74:75], v[106:107], s[10:11], v[74:75] op_sel_hi:[1,0,1] neg_lo:[1,0,0] neg_hi:[1,0,0]
	v_pk_fma_f32 v[82:83], v[106:107], s[10:11], v[82:83] op_sel_hi:[1,0,1]
	v_mov_b32_e32 v86, v74
	v_mov_b32_e32 v87, v83
	v_pk_mul_f32 v[78:79], v[78:79], s[10:11] op_sel_hi:[1,0]
	v_mov_b32_e32 v83, v75
	v_pk_add_f32 v[74:75], v[100:101], v[90:91]
	v_pk_add_f32 v[84:85], v[110:111], v[78:79] op_sel:[0,1] op_sel_hi:[1,0] neg_lo:[0,1] neg_hi:[0,1]
	v_pk_add_f32 v[88:89], v[94:95], v[78:79] op_sel:[0,1] op_sel_hi:[1,0]
	v_pk_add_f32 v[74:75], v[74:75], v[92:93]
	v_pk_add_f32 v[80:81], v[116:117], v[118:119]
	v_mov_b32_e32 v78, v88
	v_mov_b32_e32 v79, v85
	;; [unrolled: 1-line block ×3, first 2 shown]
	v_pk_add_f32 v[74:75], v[74:75], v[112:113]
	v_pk_fma_f32 v[78:79], v[80:81], s[8:9], v[78:79] op_sel_hi:[1,0,1]
	v_pk_fma_f32 v[80:81], v[80:81], s[8:9], v[84:85] op_sel_hi:[1,0,1]
	v_pk_fma_f32 v[84:85], v[120:121], s[8:9], v[82:83] op_sel_hi:[1,0,1]
	v_pk_add_f32 v[82:83], v[74:75], v[114:115]
	v_pk_add_f32 v[74:75], v[92:93], v[112:113]
	v_pk_add_f32 v[106:107], v[90:91], v[114:115] neg_lo:[0,1] neg_hi:[0,1]
	v_pk_fma_f32 v[74:75], v[74:75], 0.5, v[100:101] op_sel_hi:[1,0,1] neg_lo:[1,0,0] neg_hi:[1,0,0]
	v_pk_add_f32 v[110:111], v[92:93], v[112:113] neg_lo:[0,1] neg_hi:[0,1]
	v_pk_fma_f32 v[88:89], v[106:107], s[14:15], v[74:75] op_sel:[1,0,0] op_sel_hi:[0,0,1]
	v_pk_fma_f32 v[74:75], v[106:107], s[14:15], v[74:75] op_sel:[1,0,0] op_sel_hi:[0,0,1] neg_lo:[1,0,0] neg_hi:[1,0,0]
	v_pk_fma_f32 v[74:75], v[110:111], s[10:11], v[74:75] op_sel:[1,0,0] op_sel_hi:[0,0,1] neg_lo:[1,0,0] neg_hi:[1,0,0]
	v_pk_fma_f32 v[94:95], v[110:111], s[10:11], v[88:89] op_sel:[1,0,0] op_sel_hi:[0,0,1]
	v_pk_add_f32 v[116:117], v[90:91], v[92:93] neg_lo:[0,1] neg_hi:[0,1]
	v_pk_add_f32 v[118:119], v[114:115], v[112:113] neg_lo:[0,1] neg_hi:[0,1]
	v_mov_b32_e32 v89, v75
	v_pk_add_f32 v[116:117], v[116:117], v[118:119]
	v_mov_b32_e32 v75, v95
	v_mov_b32_e32 v88, v94
	v_pk_fma_f32 v[94:95], v[116:117], s[8:9], v[74:75] op_sel_hi:[1,0,1]
	v_pk_add_f32 v[74:75], v[90:91], v[114:115]
	v_pk_add_f32 v[90:91], v[92:93], v[90:91] neg_lo:[0,1] neg_hi:[0,1]
	v_pk_fma_f32 v[74:75], v[74:75], 0.5, v[100:101] op_sel_hi:[1,0,1] neg_lo:[1,0,0] neg_hi:[1,0,0]
	v_pk_add_f32 v[92:93], v[112:113], v[114:115] neg_lo:[0,1] neg_hi:[0,1]
	v_pk_fma_f32 v[100:101], v[110:111], s[14:15], v[74:75] op_sel:[1,0,0] op_sel_hi:[0,0,1] neg_lo:[1,0,0] neg_hi:[1,0,0]
	v_pk_fma_f32 v[74:75], v[110:111], s[14:15], v[74:75] op_sel:[1,0,0] op_sel_hi:[0,0,1]
	v_pk_fma_f32 v[74:75], v[106:107], s[10:11], v[74:75] op_sel:[1,0,0] op_sel_hi:[0,0,1] neg_lo:[1,0,0] neg_hi:[1,0,0]
	v_pk_fma_f32 v[100:101], v[106:107], s[10:11], v[100:101] op_sel:[1,0,0] op_sel_hi:[0,0,1]
	v_pk_fma_f32 v[86:87], v[120:121], s[8:9], v[86:87] op_sel_hi:[1,0,1]
	v_pk_fma_f32 v[88:89], v[116:117], s[8:9], v[88:89] op_sel_hi:[1,0,1]
	v_mov_b32_e32 v106, v100
	v_mov_b32_e32 v107, v75
	v_pk_add_f32 v[92:93], v[90:91], v[92:93]
	v_mov_b32_e32 v75, v101
	ds_read2_b64 v[110:113], v220 offset0:78 offset1:91
	ds_read2_b64 v[114:117], v220 offset1:13
	ds_read2_b64 v[118:121], v220 offset0:130 offset1:143
	ds_read2_b64 v[122:125], v220 offset0:208 offset1:221
	;; [unrolled: 1-line block ×3, first 2 shown]
	v_pk_fma_f32 v[90:91], v[92:93], s[8:9], v[106:107] op_sel_hi:[1,0,1]
	v_pk_fma_f32 v[92:93], v[92:93], s[8:9], v[74:75] op_sel_hi:[1,0,1]
	s_waitcnt vmcnt(2) lgkmcnt(4)
	v_pk_mul_f32 v[74:75], v[110:111], v[60:61] op_sel:[0,1]
	s_nop 0
	v_pk_fma_f32 v[100:101], v[110:111], v[60:61], v[74:75] op_sel:[0,0,1] op_sel_hi:[1,1,0] neg_lo:[0,0,1] neg_hi:[0,0,1]
	v_pk_fma_f32 v[74:75], v[110:111], v[60:61], v[74:75] op_sel:[0,0,1] op_sel_hi:[1,0,0]
	s_nop 0
	v_mov_b32_e32 v74, v63
	v_mov_b32_e32 v101, v75
	s_waitcnt lgkmcnt(2)
	v_pk_mul_f32 v[74:75], v[120:121], v[74:75] op_sel_hi:[1,0]
	s_nop 0
	v_pk_fma_f32 v[106:107], v[120:121], v[62:63], v[74:75] op_sel:[0,0,1] op_sel_hi:[1,1,0] neg_lo:[0,0,1] neg_hi:[0,0,1]
	v_pk_fma_f32 v[74:75], v[120:121], v[62:63], v[74:75] op_sel:[0,0,1] op_sel_hi:[1,0,0]
	s_nop 0
	v_mov_b32_e32 v107, v75
	s_waitcnt lgkmcnt(1)
	v_pk_mul_f32 v[74:75], v[122:123], v[56:57] op_sel:[0,1]
	s_nop 0
	v_pk_fma_f32 v[110:111], v[122:123], v[56:57], v[74:75] op_sel:[0,0,1] op_sel_hi:[1,1,0] neg_lo:[0,0,1] neg_hi:[0,0,1]
	v_pk_fma_f32 v[74:75], v[122:123], v[56:57], v[74:75] op_sel:[0,0,1] op_sel_hi:[1,0,0]
	s_waitcnt vmcnt(0)
	v_pk_mul_f32 v[122:123], v[112:113], v[52:53] op_sel:[0,1]
	v_mov_b32_e32 v74, v59
	v_mov_b32_e32 v111, v75
	s_waitcnt lgkmcnt(0)
	v_pk_mul_f32 v[74:75], v[128:129], v[74:75] op_sel_hi:[1,0]
	s_nop 0
	v_pk_fma_f32 v[120:121], v[128:129], v[58:59], v[74:75] op_sel:[0,0,1] op_sel_hi:[1,1,0] neg_lo:[0,0,1] neg_hi:[0,0,1]
	v_pk_fma_f32 v[74:75], v[128:129], v[58:59], v[74:75] op_sel:[0,0,1] op_sel_hi:[1,0,0]
	v_pk_fma_f32 v[128:129], v[112:113], v[52:53], v[122:123] op_sel:[0,0,1] op_sel_hi:[1,1,0] neg_lo:[0,0,1] neg_hi:[0,0,1]
	v_pk_fma_f32 v[112:113], v[112:113], v[52:53], v[122:123] op_sel:[0,0,1] op_sel_hi:[1,0,0]
	v_mov_b32_e32 v121, v75
	v_mov_b32_e32 v112, v55
	v_pk_mul_f32 v[122:123], v[104:105], v[112:113] op_sel_hi:[1,0]
	v_mov_b32_e32 v129, v113
	v_pk_fma_f32 v[130:131], v[104:105], v[54:55], v[122:123] op_sel:[0,0,1] op_sel_hi:[1,1,0] neg_lo:[0,0,1] neg_hi:[0,0,1]
	v_pk_fma_f32 v[104:105], v[104:105], v[54:55], v[122:123] op_sel:[0,0,1] op_sel_hi:[1,0,0]
	v_mov_b32_e32 v112, v113
	v_mov_b32_e32 v131, v105
	v_pk_mul_f32 v[104:105], v[124:125], v[48:49] op_sel:[0,1]
	v_mov_b32_e32 v113, v128
	v_pk_fma_f32 v[122:123], v[124:125], v[48:49], v[104:105] op_sel:[0,0,1] op_sel_hi:[1,1,0] neg_lo:[0,0,1] neg_hi:[0,0,1]
	v_pk_fma_f32 v[104:105], v[124:125], v[48:49], v[104:105] op_sel:[0,0,1] op_sel_hi:[1,0,0]
	v_pk_add_f32 v[74:75], v[116:117], v[100:101]
	v_mov_b32_e32 v104, v51
	v_mov_b32_e32 v123, v105
	v_pk_mul_f32 v[104:105], v[108:109], v[104:105] op_sel_hi:[1,0]
	v_pk_add_f32 v[74:75], v[74:75], v[106:107]
	v_pk_fma_f32 v[124:125], v[108:109], v[50:51], v[104:105] op_sel:[0,0,1] op_sel_hi:[1,1,0] neg_lo:[0,0,1] neg_hi:[0,0,1]
	v_pk_fma_f32 v[104:105], v[108:109], v[50:51], v[104:105] op_sel:[0,0,1] op_sel_hi:[1,0,0]
	v_pk_add_f32 v[74:75], v[74:75], v[110:111]
	v_mov_b32_e32 v125, v105
	v_pk_add_f32 v[132:133], v[128:129], v[124:125]
	v_mov_b32_e32 v104, v105
	v_mov_b32_e32 v105, v124
	v_pk_add_f32 v[104:105], v[112:113], v[104:105] neg_lo:[0,1] neg_hi:[0,1]
	v_pk_fma_f32 v[112:113], v[132:133], 0.5, v[72:73] op_sel_hi:[1,0,1] neg_lo:[1,0,0] neg_hi:[1,0,0]
	v_pk_add_f32 v[132:133], v[130:131], v[128:129] neg_lo:[0,1] neg_hi:[0,1]
	v_pk_add_f32 v[134:135], v[122:123], v[124:125] neg_lo:[0,1] neg_hi:[0,1]
	v_pk_add_f32 v[108:109], v[72:73], v[128:129]
	v_pk_add_f32 v[132:133], v[132:133], v[134:135]
	v_pk_mul_f32 v[134:135], v[102:103], v[68:69] op_sel:[0,1]
	v_pk_add_f32 v[108:109], v[108:109], v[130:131]
	v_pk_fma_f32 v[136:137], v[102:103], v[68:69], v[134:135] op_sel:[0,0,1] op_sel_hi:[1,1,0] neg_lo:[0,0,1] neg_hi:[0,0,1]
	v_pk_fma_f32 v[102:103], v[102:103], v[68:69], v[134:135] op_sel:[0,0,1] op_sel_hi:[1,0,0]
	v_pk_add_f32 v[74:75], v[74:75], v[120:121]
	v_mov_b32_e32 v102, v71
	v_mov_b32_e32 v137, v103
	v_pk_mul_f32 v[102:103], v[118:119], v[102:103] op_sel_hi:[1,0]
	v_pk_add_f32 v[146:147], v[114:115], v[136:137]
	v_pk_fma_f32 v[134:135], v[118:119], v[70:71], v[102:103] op_sel:[0,0,1] op_sel_hi:[1,1,0] neg_lo:[0,0,1] neg_hi:[0,0,1]
	v_pk_fma_f32 v[102:103], v[118:119], v[70:71], v[102:103] op_sel:[0,0,1] op_sel_hi:[1,0,0]
	v_pk_add_f32 v[108:109], v[108:109], v[122:123]
	v_mov_b32_e32 v135, v103
	v_pk_mul_f32 v[102:103], v[96:97], v[64:65] op_sel:[0,1]
	v_pk_add_f32 v[146:147], v[146:147], v[134:135]
	v_pk_fma_f32 v[118:119], v[96:97], v[64:65], v[102:103] op_sel:[0,0,1] op_sel_hi:[1,1,0] neg_lo:[0,0,1] neg_hi:[0,0,1]
	v_pk_fma_f32 v[96:97], v[96:97], v[64:65], v[102:103] op_sel:[0,0,1] op_sel_hi:[1,0,0]
	v_pk_add_f32 v[140:141], v[136:137], v[134:135] neg_lo:[0,1] neg_hi:[0,1]
	v_mov_b32_e32 v96, v67
	v_mov_b32_e32 v119, v97
	v_pk_mul_f32 v[96:97], v[126:127], v[96:97] op_sel_hi:[1,0]
	v_pk_add_f32 v[146:147], v[146:147], v[118:119]
	v_pk_fma_f32 v[102:103], v[126:127], v[66:67], v[96:97] op_sel:[0,0,1] op_sel_hi:[1,1,0] neg_lo:[0,0,1] neg_hi:[0,0,1]
	v_pk_fma_f32 v[96:97], v[126:127], v[66:67], v[96:97] op_sel:[0,0,1] op_sel_hi:[1,0,0]
	v_pk_add_f32 v[138:139], v[134:135], v[118:119] neg_lo:[0,1] neg_hi:[0,1]
	v_mov_b32_e32 v103, v97
	v_pk_add_f32 v[146:147], v[146:147], v[102:103]
	v_pk_add_f32 v[96:97], v[134:135], v[118:119]
	ds_write_b64 v220, v[146:147]
	v_pk_add_f32 v[146:147], v[136:137], v[102:103]
	v_pk_fma_f32 v[96:97], v[96:97], 0.5, v[114:115] op_sel_hi:[1,0,1] neg_lo:[1,0,0] neg_hi:[1,0,0]
	v_pk_fma_f32 v[114:115], v[146:147], 0.5, v[114:115] op_sel_hi:[1,0,1] neg_lo:[1,0,0] neg_hi:[1,0,0]
	v_pk_add_f32 v[126:127], v[136:137], v[102:103] neg_lo:[0,1] neg_hi:[0,1]
	v_pk_add_f32 v[142:143], v[102:103], v[118:119] neg_lo:[0,1] neg_hi:[0,1]
	;; [unrolled: 1-line block ×3, first 2 shown]
	v_pk_fma_f32 v[118:119], v[138:139], s[14:15], v[114:115] op_sel:[1,0,0] op_sel_hi:[0,0,1] neg_lo:[1,0,0] neg_hi:[1,0,0]
	v_pk_fma_f32 v[114:115], v[138:139], s[14:15], v[114:115] op_sel:[1,0,0] op_sel_hi:[0,0,1]
	v_pk_add_f32 v[140:141], v[140:141], v[142:143]
	v_pk_fma_f32 v[142:143], v[126:127], s[14:15], v[96:97] op_sel:[1,0,0] op_sel_hi:[0,0,1]
	v_pk_fma_f32 v[96:97], v[126:127], s[14:15], v[96:97] op_sel:[1,0,0] op_sel_hi:[0,0,1] neg_lo:[1,0,0] neg_hi:[1,0,0]
	v_pk_add_f32 v[134:135], v[134:135], v[136:137] neg_lo:[0,1] neg_hi:[0,1]
	v_pk_fma_f32 v[114:115], v[126:127], s[10:11], v[114:115] op_sel:[1,0,0] op_sel_hi:[0,0,1] neg_lo:[1,0,0] neg_hi:[1,0,0]
	v_pk_fma_f32 v[118:119], v[126:127], s[10:11], v[118:119] op_sel:[1,0,0] op_sel_hi:[0,0,1]
	v_pk_fma_f32 v[96:97], v[138:139], s[10:11], v[96:97] op_sel:[1,0,0] op_sel_hi:[0,0,1] neg_lo:[1,0,0] neg_hi:[1,0,0]
	v_pk_fma_f32 v[142:143], v[138:139], s[10:11], v[142:143] op_sel:[1,0,0] op_sel_hi:[0,0,1]
	v_pk_add_f32 v[102:103], v[134:135], v[102:103]
	v_mov_b32_e32 v126, v118
	v_mov_b32_e32 v127, v115
	;; [unrolled: 1-line block ×5, first 2 shown]
	v_pk_fma_f32 v[126:127], v[102:103], s[8:9], v[126:127] op_sel_hi:[1,0,1]
	v_pk_fma_f32 v[102:103], v[102:103], s[8:9], v[114:115] op_sel_hi:[1,0,1]
	v_mov_b32_e32 v97, v143
	v_pk_add_f32 v[114:115], v[106:107], v[110:111]
	v_pk_add_f32 v[118:119], v[100:101], v[120:121] neg_lo:[0,1] neg_hi:[0,1]
	v_pk_fma_f32 v[144:145], v[140:141], s[8:9], v[144:145] op_sel_hi:[1,0,1]
	v_pk_fma_f32 v[96:97], v[140:141], s[8:9], v[96:97] op_sel_hi:[1,0,1]
	v_pk_fma_f32 v[114:115], v[114:115], 0.5, v[116:117] op_sel_hi:[1,0,1] neg_lo:[1,0,0] neg_hi:[1,0,0]
	v_pk_mul_f32 v[134:135], v[118:119], s[14:15] op_sel_hi:[1,0]
	v_pk_add_f32 v[136:137], v[106:107], v[110:111] neg_lo:[0,1] neg_hi:[0,1]
	v_pk_add_f32 v[140:141], v[100:101], v[106:107] neg_lo:[0,1] neg_hi:[0,1]
	;; [unrolled: 1-line block ×3, first 2 shown]
	v_pk_mul_f32 v[138:139], v[136:137], s[10:11] op_sel_hi:[1,0]
	v_pk_add_f32 v[140:141], v[140:141], v[142:143]
	v_pk_add_f32 v[142:143], v[114:115], v[134:135] op_sel:[0,1] op_sel_hi:[1,0]
	v_pk_add_f32 v[114:115], v[114:115], v[134:135] op_sel:[0,1] op_sel_hi:[1,0] neg_lo:[0,1] neg_hi:[0,1]
	v_pk_add_f32 v[134:135], v[142:143], v[138:139] op_sel:[0,1] op_sel_hi:[1,0]
	v_pk_add_f32 v[114:115], v[114:115], v[138:139] op_sel:[0,1] op_sel_hi:[1,0] neg_lo:[0,1] neg_hi:[0,1]
	v_mov_b32_e32 v138, v134
	v_mov_b32_e32 v139, v115
	v_pk_fma_f32 v[138:139], v[140:141], s[8:9], v[138:139] op_sel_hi:[1,0,1]
	ds_write2_b64 v167, v[144:145], v[138:139] offset0:65 offset1:78
	v_pk_add_f32 v[138:139], v[100:101], v[120:121]
	v_pk_add_f32 v[100:101], v[106:107], v[100:101] neg_lo:[0,1] neg_hi:[0,1]
	v_pk_add_f32 v[106:107], v[110:111], v[120:121] neg_lo:[0,1] neg_hi:[0,1]
	v_pk_fma_f32 v[116:117], v[138:139], 0.5, v[116:117] op_sel_hi:[1,0,1] neg_lo:[1,0,0] neg_hi:[1,0,0]
	v_pk_add_f32 v[100:101], v[100:101], v[106:107]
	v_pk_mul_f32 v[106:107], v[136:137], s[14:15] op_sel_hi:[1,0]
	v_pk_mul_f32 v[110:111], v[118:119], s[10:11] op_sel_hi:[1,0]
	v_pk_add_f32 v[118:119], v[116:117], v[106:107] op_sel:[0,1] op_sel_hi:[1,0] neg_lo:[0,1] neg_hi:[0,1]
	v_pk_add_f32 v[106:107], v[116:117], v[106:107] op_sel:[0,1] op_sel_hi:[1,0]
	v_mov_b32_e32 v115, v135
	v_pk_add_f32 v[106:107], v[106:107], v[110:111] op_sel:[0,1] op_sel_hi:[1,0] neg_lo:[0,1] neg_hi:[0,1]
	v_pk_add_f32 v[110:111], v[118:119], v[110:111] op_sel:[0,1] op_sel_hi:[1,0]
	v_mov_b32_e32 v117, v107
	v_mov_b32_e32 v116, v110
	;; [unrolled: 1-line block ×3, first 2 shown]
	v_pk_fma_f32 v[116:117], v[100:101], s[8:9], v[116:117] op_sel_hi:[1,0,1]
	v_pk_fma_f32 v[100:101], v[100:101], s[8:9], v[106:107] op_sel_hi:[1,0,1]
	ds_write2_b64 v167, v[102:103], v[100:101] offset0:195 offset1:208
	v_pk_fma_f32 v[100:101], v[140:141], s[8:9], v[114:115] op_sel_hi:[1,0,1]
	v_pk_add_f32 v[108:109], v[108:109], v[124:125]
	ds_write2_b64 v167, v[126:127], v[116:117] offset0:130 offset1:143
	ds_write2_b64 v99, v[96:97], v[100:101] offset0:4 offset1:17
	;; [unrolled: 1-line block ×3, first 2 shown]
	v_pk_add_f32 v[74:75], v[130:131], v[122:123]
	v_pk_add_f32 v[100:101], v[128:129], v[130:131] neg_lo:[0,1] neg_hi:[0,1]
	v_pk_fma_f32 v[72:73], v[74:75], 0.5, v[72:73] op_sel_hi:[1,0,1] neg_lo:[1,0,0] neg_hi:[1,0,0]
	v_pk_add_f32 v[74:75], v[130:131], v[122:123] neg_lo:[0,1] neg_hi:[0,1]
	v_pk_add_f32 v[102:103], v[124:125], v[122:123] neg_lo:[0,1] neg_hi:[0,1]
	v_pk_mul_f32 v[96:97], v[74:75], s[10:11] op_sel_hi:[1,0]
	v_pk_add_f32 v[100:101], v[100:101], v[102:103]
	v_pk_fma_f32 v[102:103], v[104:105], s[14:15], v[72:73] op_sel_hi:[1,0,1] neg_lo:[1,0,0] neg_hi:[1,0,0]
	v_pk_fma_f32 v[72:73], v[104:105], s[14:15], v[72:73] op_sel_hi:[1,0,1]
	v_pk_add_f32 v[102:103], v[102:103], v[96:97] op_sel:[0,1] op_sel_hi:[1,0] neg_lo:[0,1] neg_hi:[0,1]
	v_pk_add_f32 v[72:73], v[96:97], v[72:73] op_sel:[1,0] op_sel_hi:[0,1]
	v_pk_mul_f32 v[106:107], v[74:75], s[14:15] op_sel_hi:[1,0]
	v_mov_b32_e32 v74, v72
	v_mov_b32_e32 v75, v103
	;; [unrolled: 1-line block ×3, first 2 shown]
	v_pk_fma_f32 v[96:97], v[100:101], s[8:9], v[74:75] op_sel_hi:[1,0,1]
	v_pk_fma_f32 v[74:75], v[100:101], s[8:9], v[102:103] op_sel_hi:[1,0,1]
	v_pk_add_f32 v[72:73], v[112:113], v[106:107] op_sel:[0,1] op_sel_hi:[1,0]
	v_pk_add_f32 v[100:101], v[112:113], v[106:107] op_sel:[0,1] op_sel_hi:[1,0] neg_lo:[0,1] neg_hi:[0,1]
	v_pk_fma_f32 v[102:103], v[104:105], s[10:11], v[72:73] op_sel_hi:[1,0,1] neg_lo:[1,0,0] neg_hi:[1,0,0]
	v_pk_fma_f32 v[100:101], v[104:105], s[10:11], v[100:101] op_sel_hi:[1,0,1]
	v_mov_b32_e32 v72, v102
	v_mov_b32_e32 v73, v101
	;; [unrolled: 1-line block ×3, first 2 shown]
	v_pk_fma_f32 v[72:73], v[132:133], s[8:9], v[72:73] op_sel_hi:[1,0,1]
	v_pk_fma_f32 v[100:101], v[132:133], s[8:9], v[100:101] op_sel_hi:[1,0,1]
	ds_write2_b64 v167, v[96:97], v[78:79] offset0:91 offset1:104
	ds_write2_b64 v167, v[100:101], v[84:85] offset0:156 offset1:169
	;; [unrolled: 1-line block ×6, first 2 shown]
	v_accvgpr_read_b32 v97, a1
	v_add_u32_e32 v116, 0x400, v220
	v_accvgpr_read_b32 v96, a0
	ds_write2_b64 v116, v[92:93], v[94:95] offset0:119 offset1:184
	s_waitcnt lgkmcnt(0)
	; wave barrier
	s_waitcnt lgkmcnt(0)
	global_load_dwordx2 v[104:105], v[96:97], off offset:2600
	s_add_u32 s8, s12, 0xa28
	s_addc_u32 s9, s13, 0
	v_lshlrev_b32_e32 v96, 3, v248
	global_load_dwordx2 v[108:109], v96, s[8:9] offset:200
	global_load_dwordx2 v[110:111], v96, s[8:9] offset:400
	;; [unrolled: 1-line block ×12, first 2 shown]
	ds_read2_b64 v[100:103], v220 offset1:25
	s_waitcnt vmcnt(12) lgkmcnt(0)
	v_mul_f32_e32 v97, v101, v105
	v_mul_f32_e32 v135, v100, v105
	v_fma_f32 v134, v100, v104, -v97
	v_fmac_f32_e32 v135, v101, v104
	ds_read2_b64 v[104:107], v220 offset0:50 offset1:75
	s_waitcnt vmcnt(11)
	v_mul_f32_e32 v97, v103, v109
	v_mul_f32_e32 v101, v102, v109
	v_fma_f32 v100, v102, v108, -v97
	v_fmac_f32_e32 v101, v103, v108
	ds_write2_b64 v220, v[134:135], v[100:101] offset1:25
	ds_read2_b64 v[100:103], v220 offset0:100 offset1:125
	s_waitcnt vmcnt(10) lgkmcnt(2)
	v_mul_f32_e32 v97, v105, v111
	v_mul_f32_e32 v109, v104, v111
	v_fma_f32 v108, v104, v110, -v97
	v_fmac_f32_e32 v109, v105, v110
	s_waitcnt vmcnt(9)
	v_mul_f32_e32 v97, v107, v113
	v_mul_f32_e32 v105, v106, v113
	v_fma_f32 v104, v106, v112, -v97
	v_fmac_f32_e32 v105, v107, v112
	ds_write2_b64 v220, v[108:109], v[104:105] offset0:50 offset1:75
	ds_read2_b64 v[104:107], v220 offset0:150 offset1:175
	s_waitcnt vmcnt(8) lgkmcnt(2)
	v_mul_f32_e32 v97, v101, v115
	v_mul_f32_e32 v109, v100, v115
	v_fma_f32 v108, v100, v114, -v97
	v_fmac_f32_e32 v109, v101, v114
	s_waitcnt vmcnt(7)
	v_mul_f32_e32 v97, v103, v119
	v_mul_f32_e32 v101, v102, v119
	v_fma_f32 v100, v102, v118, -v97
	v_fmac_f32_e32 v101, v103, v118
	ds_write2_b64 v220, v[108:109], v[100:101] offset0:100 offset1:125
	;; [unrolled: 12-line block ×3, first 2 shown]
	ds_read2_b64 v[104:107], v116 offset0:122 offset1:147
	s_waitcnt vmcnt(4) lgkmcnt(2)
	v_mul_f32_e32 v97, v101, v125
	v_mul_f32_e32 v109, v100, v125
	v_fma_f32 v108, v100, v124, -v97
	v_fmac_f32_e32 v109, v101, v124
	s_waitcnt vmcnt(3)
	v_mul_f32_e32 v97, v103, v127
	v_mul_f32_e32 v101, v102, v127
	v_fma_f32 v100, v102, v126, -v97
	v_fmac_f32_e32 v101, v103, v126
	ds_read_b64 v[102:103], v220 offset:2400
	ds_write2_b64 v220, v[108:109], v[100:101] offset0:200 offset1:225
	s_waitcnt vmcnt(2) lgkmcnt(2)
	v_mul_f32_e32 v97, v105, v129
	v_mul_f32_e32 v101, v104, v129
	v_fma_f32 v100, v104, v128, -v97
	v_fmac_f32_e32 v101, v105, v128
	s_waitcnt vmcnt(1)
	v_mul_f32_e32 v97, v107, v131
	v_mul_f32_e32 v105, v106, v131
	v_fma_f32 v104, v106, v130, -v97
	v_fmac_f32_e32 v105, v107, v130
	ds_write2_b64 v116, v[100:101], v[104:105] offset0:122 offset1:147
	s_waitcnt vmcnt(0) lgkmcnt(2)
	v_mul_f32_e32 v97, v103, v133
	v_mul_f32_e32 v101, v102, v133
	v_fma_f32 v100, v102, v132, -v97
	v_fmac_f32_e32 v101, v103, v132
	ds_write_b64 v220, v[100:101] offset:2400
	s_and_saveexec_b64 s[0:1], vcc
	s_cbranch_execz .LBB0_9
; %bb.8:
	v_mov_b32_e32 v97, 0
	v_lshl_add_u64 v[96:97], s[8:9], 0, v[96:97]
	global_load_dwordx2 v[100:101], v[96:97], off offset:104
	global_load_dwordx2 v[126:127], v[96:97], off offset:304
	;; [unrolled: 1-line block ×12, first 2 shown]
	s_nop 0
	global_load_dwordx2 v[96:97], v[96:97], off offset:2504
	ds_read_b64 v[102:103], v167 offset:104
	v_mov_b64_e32 v[160:161], v[150:151]
	s_waitcnt vmcnt(12) lgkmcnt(0)
	v_mul_f32_e32 v99, v103, v101
	v_mul_f32_e32 v105, v102, v101
	v_fma_f32 v104, v102, v100, -v99
	v_fmac_f32_e32 v105, v103, v100
	ds_write_b64 v167, v[104:105] offset:104
	ds_read2_b64 v[100:103], v220 offset0:38 offset1:63
	ds_read2_b64 v[104:107], v220 offset0:88 offset1:113
	;; [unrolled: 1-line block ×6, first 2 shown]
	s_waitcnt vmcnt(11) lgkmcnt(5)
	v_mul_f32_e32 v99, v101, v127
	v_mul_f32_e32 v149, v100, v127
	s_waitcnt vmcnt(10)
	v_mul_f32_e32 v117, v103, v129
	v_mul_f32_e32 v127, v102, v129
	s_waitcnt vmcnt(9) lgkmcnt(4)
	v_mul_f32_e32 v150, v105, v131
	v_mul_f32_e32 v129, v104, v131
	s_waitcnt vmcnt(8)
	v_mul_f32_e32 v151, v107, v133
	v_mul_f32_e32 v131, v106, v133
	;; [unrolled: 6-line block ×6, first 2 shown]
	v_fma_f32 v148, v100, v126, -v99
	v_fmac_f32_e32 v149, v101, v126
	v_fma_f32 v126, v102, v128, -v117
	v_fmac_f32_e32 v127, v103, v128
	;; [unrolled: 2-line block ×3, first 2 shown]
	v_fma_f32 v130, v106, v132, -v151
	v_mov_b64_e32 v[150:151], v[160:161]
	v_fmac_f32_e32 v131, v107, v132
	v_fma_f32 v132, v108, v134, -v152
	v_fmac_f32_e32 v133, v109, v134
	v_fma_f32 v134, v110, v136, -v153
	v_fmac_f32_e32 v135, v111, v136
	v_fma_f32 v136, v112, v138, -v154
	v_fmac_f32_e32 v137, v113, v138
	v_fma_f32 v138, v114, v140, -v155
	v_fmac_f32_e32 v139, v115, v140
	v_fma_f32 v140, v118, v142, -v156
	v_fmac_f32_e32 v141, v119, v142
	v_fma_f32 v142, v120, v144, -v157
	v_fmac_f32_e32 v143, v121, v144
	v_fma_f32 v144, v122, v146, -v158
	v_fmac_f32_e32 v145, v123, v146
	v_fma_f32 v146, v124, v96, -v159
	v_fmac_f32_e32 v147, v125, v96
	ds_write2_b64 v220, v[148:149], v[126:127] offset0:38 offset1:63
	ds_write2_b64 v220, v[128:129], v[130:131] offset0:88 offset1:113
	;; [unrolled: 1-line block ×6, first 2 shown]
.LBB0_9:
	s_or_b64 exec, exec, s[0:1]
	s_waitcnt lgkmcnt(0)
	; wave barrier
	s_waitcnt lgkmcnt(0)
	ds_read2_b64 v[96:99], v220 offset1:25
	ds_read2_b64 v[112:115], v220 offset0:50 offset1:75
	ds_read2_b64 v[104:107], v220 offset0:100 offset1:125
	ds_read2_b64 v[100:103], v220 offset0:150 offset1:175
	ds_read2_b64 v[108:111], v220 offset0:200 offset1:225
	ds_read2_b64 v[116:119], v116 offset0:122 offset1:147
	ds_read_b64 v[120:121], v220 offset:2400
	s_and_saveexec_b64 s[0:1], vcc
	s_cbranch_execz .LBB0_11
; %bb.10:
	ds_read2_b64 v[72:75], v167 offset0:13 offset1:38
	ds_read2_b64 v[76:79], v167 offset0:63 offset1:88
	;; [unrolled: 1-line block ×5, first 2 shown]
	v_add_u32_e32 v92, 0x800, v167
	ds_read2_b64 v[92:95], v92 offset0:7 offset1:32
	ds_read_b64 v[150:151], v167 offset:2504
.LBB0_11:
	s_or_b64 exec, exec, s[0:1]
	v_mov_b32_e32 v122, v28
	v_mov_b32_e32 v123, v28
	v_accvgpr_write_b32 a36, v122
	v_accvgpr_write_b32 a37, v123
	v_mov_b32_e32 v122, v20
	v_mov_b32_e32 v123, v20
	v_accvgpr_write_b32 a32, v122
	v_accvgpr_write_b32 a33, v123
	s_waitcnt lgkmcnt(6)
	v_pk_add_f32 v[122:123], v[96:97], v[98:99]
	s_waitcnt lgkmcnt(0)
	v_pk_add_f32 v[170:171], v[120:121], v[98:99]
	v_pk_add_f32 v[122:123], v[122:123], v[112:113]
	v_pk_add_f32 v[98:99], v[98:99], v[120:121] neg_lo:[0,1] neg_hi:[0,1]
	v_pk_add_f32 v[122:123], v[122:123], v[114:115]
	s_mov_b32 s40, 0xbeedf032
	v_pk_add_f32 v[122:123], v[122:123], v[104:105]
	s_mov_b32 s0, 0x3f62ad3f
	v_pk_add_f32 v[122:123], v[122:123], v[106:107]
	v_pk_add_f32 v[172:173], v[118:119], v[112:113]
	;; [unrolled: 1-line block ×3, first 2 shown]
	v_pk_add_f32 v[112:113], v[112:113], v[118:119] neg_lo:[0,1] neg_hi:[0,1]
	v_pk_add_f32 v[122:123], v[122:123], v[102:103]
	s_mov_b32 s20, 0xbf52af12
	v_pk_add_f32 v[122:123], v[122:123], v[108:109]
	s_mov_b32 s8, 0x3f116cb1
	v_pk_add_f32 v[122:123], v[122:123], v[110:111]
	v_pk_add_f32 v[174:175], v[116:117], v[114:115]
	;; [unrolled: 1-line block ×3, first 2 shown]
	v_pk_add_f32 v[114:115], v[114:115], v[116:117] neg_lo:[0,1] neg_hi:[0,1]
	v_pk_add_f32 v[122:123], v[122:123], v[118:119]
	v_pk_mul_f32 v[118:119], v[112:113], s[20:21] op_sel_hi:[1,0]
	v_pk_add_f32 v[122:123], v[122:123], v[120:121]
	v_pk_mul_f32 v[120:121], v[98:99], s[40:41] op_sel_hi:[1,0]
	v_pk_fma_f32 v[210:211], v[172:173], s[8:9], v[118:119] op_sel:[0,0,1] op_sel_hi:[1,0,0] neg_lo:[0,0,1] neg_hi:[0,0,1]
	v_pk_fma_f32 v[124:125], v[170:171], s[0:1], v[120:121] op_sel:[0,0,1] op_sel_hi:[1,0,0]
	v_pk_fma_f32 v[206:207], v[170:171], s[0:1], v[120:121] op_sel:[0,0,1] op_sel_hi:[1,0,0] neg_lo:[0,0,1] neg_hi:[0,0,1]
	v_mov_b32_e32 v120, v124
	v_accvgpr_write_b32 a55, v125
	v_mov_b32_e32 v121, v207
	v_pk_fma_f32 v[124:125], v[172:173], s[8:9], v[118:119] op_sel:[0,0,1] op_sel_hi:[1,0,0]
	s_mov_b32 s28, 0xbf7e222b
	v_pk_add_f32 v[120:121], v[96:97], v[120:121]
	v_mov_b32_e32 v118, v124
	v_mov_b32_e32 v119, v211
	s_mov_b32 s10, 0x3df6dbef
	v_pk_mul_f32 v[116:117], v[114:115], s[28:29] op_sel_hi:[1,0]
	v_pk_add_f32 v[118:119], v[118:119], v[120:121]
	v_pk_fma_f32 v[120:121], v[174:175], s[10:11], v[116:117] op_sel:[0,0,1] op_sel_hi:[1,0,0]
	v_pk_fma_f32 v[214:215], v[174:175], s[10:11], v[116:117] op_sel:[0,0,1] op_sel_hi:[1,0,0] neg_lo:[0,0,1] neg_hi:[0,0,1]
	v_mov_b32_e32 v116, v120
	v_mov_b32_e32 v117, v215
	v_pk_add_f32 v[116:117], v[116:117], v[118:119]
	v_pk_add_f32 v[118:119], v[110:111], v[104:105]
	v_pk_add_f32 v[104:105], v[104:105], v[110:111] neg_lo:[0,1] neg_hi:[0,1]
	s_mov_b32 s14, 0xbf6f5d39
	s_mov_b32 s12, 0xbeb58ec6
	v_pk_mul_f32 v[110:111], v[104:105], s[14:15] op_sel_hi:[1,0]
	v_accvgpr_write_b32 a59, v121
	v_pk_fma_f32 v[120:121], v[118:119], s[12:13], v[110:111] op_sel:[0,0,1] op_sel_hi:[1,0,0]
	v_pk_fma_f32 v[218:219], v[118:119], s[12:13], v[110:111] op_sel:[0,0,1] op_sel_hi:[1,0,0] neg_lo:[0,0,1] neg_hi:[0,0,1]
	v_mov_b32_e32 v110, v120
	v_mov_b32_e32 v111, v219
	v_pk_add_f32 v[110:111], v[110:111], v[116:117]
	v_pk_add_f32 v[116:117], v[108:109], v[106:107]
	v_pk_add_f32 v[106:107], v[106:107], v[108:109] neg_lo:[0,1] neg_hi:[0,1]
	s_mov_b32 s18, 0xbf29c268
	s_mov_b32 s16, 0xbf3f9e67
	v_pk_mul_f32 v[108:109], v[106:107], s[18:19] op_sel_hi:[1,0]
	v_accvgpr_write_b32 a61, v121
	;; [unrolled: 11-line block ×3, first 2 shown]
	v_pk_fma_f32 v[120:121], v[110:111], s[22:23], v[102:103] op_sel:[0,0,1] op_sel_hi:[1,0,0]
	v_pk_fma_f32 v[226:227], v[110:111], s[22:23], v[102:103] op_sel:[0,0,1] op_sel_hi:[1,0,0] neg_lo:[0,0,1] neg_hi:[0,0,1]
	v_mov_b32_e32 v102, v120
	v_mov_b32_e32 v103, v227
	v_pk_add_f32 v[102:103], v[102:103], v[108:109]
	s_waitcnt lgkmcnt(0)
	; wave barrier
	ds_write2_b64 v166, v[122:123], v[102:103] offset1:1
	v_pk_mul_f32 v[102:103], v[98:99], s[20:21] op_sel_hi:[1,0]
	v_accvgpr_write_b32 a65, v121
	v_pk_fma_f32 v[108:109], v[170:171], s[8:9], v[102:103] op_sel:[0,0,1] op_sel_hi:[1,0,0]
	v_pk_fma_f32 v[230:231], v[170:171], s[8:9], v[102:103] op_sel:[0,0,1] op_sel_hi:[1,0,0] neg_lo:[0,0,1] neg_hi:[0,0,1]
	v_mov_b32_e32 v102, v108
	v_mov_b32_e32 v207, v109
	v_pk_mul_f32 v[108:109], v[112:113], s[14:15] op_sel_hi:[1,0]
	v_mov_b32_e32 v103, v231
	v_pk_fma_f32 v[120:121], v[172:173], s[12:13], v[108:109] op_sel:[0,0,1] op_sel_hi:[1,0,0]
	v_pk_fma_f32 v[234:235], v[172:173], s[12:13], v[108:109] op_sel:[0,0,1] op_sel_hi:[1,0,0] neg_lo:[0,0,1] neg_hi:[0,0,1]
	v_pk_add_f32 v[102:103], v[96:97], v[102:103]
	v_mov_b32_e32 v108, v120
	v_mov_b32_e32 v109, v235
	v_pk_add_f32 v[102:103], v[108:109], v[102:103]
	v_pk_mul_f32 v[108:109], v[114:115], s[24:25] op_sel_hi:[1,0]
	v_mov_b32_e32 v211, v121
	v_pk_fma_f32 v[120:121], v[174:175], s[22:23], v[108:109] op_sel:[0,0,1] op_sel_hi:[1,0,0]
	v_pk_fma_f32 v[238:239], v[174:175], s[22:23], v[108:109] op_sel:[0,0,1] op_sel_hi:[1,0,0] neg_lo:[0,0,1] neg_hi:[0,0,1]
	v_mov_b32_e32 v108, v120
	v_mov_b32_e32 v109, v239
	s_mov_b32 s34, 0x3f29c268
	v_pk_add_f32 v[102:103], v[108:109], v[102:103]
	v_pk_mul_f32 v[108:109], v[104:105], s[34:35] op_sel_hi:[1,0]
	v_mov_b32_e32 v215, v121
	v_pk_fma_f32 v[120:121], v[118:119], s[16:17], v[108:109] op_sel:[0,0,1] op_sel_hi:[1,0,0]
	v_pk_fma_f32 v[242:243], v[118:119], s[16:17], v[108:109] op_sel:[0,0,1] op_sel_hi:[1,0,0] neg_lo:[0,0,1] neg_hi:[0,0,1]
	v_mov_b32_e32 v108, v120
	v_mov_b32_e32 v109, v243
	s_mov_b32 s26, 0x3f7e222b
	;; [unrolled: 8-line block ×3, first 2 shown]
	v_pk_add_f32 v[102:103], v[108:109], v[102:103]
	v_pk_mul_f32 v[108:109], v[100:101], s[30:31] op_sel_hi:[1,0]
	v_mov_b32_e32 v223, v121
	v_pk_fma_f32 v[120:121], v[110:111], s[0:1], v[108:109] op_sel:[0,0,1] op_sel_hi:[1,0,0]
	v_pk_fma_f32 v[250:251], v[110:111], s[0:1], v[108:109] op_sel:[0,0,1] op_sel_hi:[1,0,0] neg_lo:[0,0,1] neg_hi:[0,0,1]
	v_mov_b32_e32 v108, v120
	v_mov_b32_e32 v109, v251
	v_pk_add_f32 v[102:103], v[108:109], v[102:103]
	v_pk_mul_f32 v[108:109], v[98:99], s[28:29] op_sel_hi:[1,0]
	v_mov_b32_e32 v227, v121
	v_pk_fma_f32 v[252:253], v[170:171], s[10:11], v[108:109] op_sel:[0,0,1] op_sel_hi:[1,0,0]
	v_pk_fma_f32 v[254:255], v[170:171], s[10:11], v[108:109] op_sel:[0,0,1] op_sel_hi:[1,0,0] neg_lo:[0,0,1] neg_hi:[0,0,1]
	v_pk_mul_f32 v[120:121], v[112:113], s[24:25] op_sel_hi:[1,0]
	v_accvgpr_write_b32 a57, v125
	v_mov_b32_e32 v108, v252
	v_mov_b32_e32 v109, v255
	v_pk_fma_f32 v[124:125], v[172:173], s[22:23], v[120:121] op_sel:[0,0,1] op_sel_hi:[1,0,0]
	v_pk_fma_f32 v[152:153], v[172:173], s[22:23], v[120:121] op_sel:[0,0,1] op_sel_hi:[1,0,0] neg_lo:[0,0,1] neg_hi:[0,0,1]
	v_pk_add_f32 v[108:109], v[96:97], v[108:109]
	v_mov_b32_e32 v120, v124
	v_mov_b32_e32 v121, v153
	s_mov_b32 s42, 0x3f6f5d39
	v_pk_add_f32 v[108:109], v[120:121], v[108:109]
	v_pk_mul_f32 v[120:121], v[114:115], s[42:43] op_sel_hi:[1,0]
	s_mov_b32 s38, 0x3e750f2a
	v_pk_fma_f32 v[128:129], v[174:175], s[12:13], v[120:121] op_sel:[0,0,1] op_sel_hi:[1,0,0]
	v_pk_fma_f32 v[126:127], v[174:175], s[12:13], v[120:121] op_sel:[0,0,1] op_sel_hi:[1,0,0] neg_lo:[0,0,1] neg_hi:[0,0,1]
	v_mov_b32_e32 v120, v128
	v_mov_b32_e32 v121, v127
	v_pk_add_f32 v[108:109], v[120:121], v[108:109]
	v_pk_mul_f32 v[120:121], v[104:105], s[30:31] op_sel_hi:[1,0]
	s_mov_b32 s36, 0x3f52af12
	v_pk_fma_f32 v[132:133], v[118:119], s[0:1], v[120:121] op_sel:[0,0,1] op_sel_hi:[1,0,0]
	v_pk_fma_f32 v[130:131], v[118:119], s[0:1], v[120:121] op_sel:[0,0,1] op_sel_hi:[1,0,0] neg_lo:[0,0,1] neg_hi:[0,0,1]
	v_mov_b32_e32 v120, v132
	v_mov_b32_e32 v121, v131
	v_pk_add_f32 v[108:109], v[120:121], v[108:109]
	v_pk_mul_f32 v[120:121], v[106:107], s[20:21] op_sel_hi:[1,0]
	v_pk_mul_f32 v[180:181], v[112:113], s[26:27] op_sel_hi:[1,0]
	v_pk_fma_f32 v[136:137], v[116:117], s[8:9], v[120:121] op_sel:[0,0,1] op_sel_hi:[1,0,0]
	v_pk_fma_f32 v[134:135], v[116:117], s[8:9], v[120:121] op_sel:[0,0,1] op_sel_hi:[1,0,0] neg_lo:[0,0,1] neg_hi:[0,0,1]
	v_mov_b32_e32 v120, v136
	v_mov_b32_e32 v121, v135
	v_pk_add_f32 v[108:109], v[120:121], v[108:109]
	v_pk_mul_f32 v[120:121], v[100:101], s[18:19] op_sel_hi:[1,0]
	v_pk_fma_f32 v[182:183], v[172:173], s[10:11], v[180:181] op_sel:[0,0,1] op_sel_hi:[1,0,0]
	v_pk_fma_f32 v[140:141], v[110:111], s[16:17], v[120:121] op_sel:[0,0,1] op_sel_hi:[1,0,0]
	v_pk_fma_f32 v[138:139], v[110:111], s[16:17], v[120:121] op_sel:[0,0,1] op_sel_hi:[1,0,0] neg_lo:[0,0,1] neg_hi:[0,0,1]
	v_mov_b32_e32 v120, v140
	v_mov_b32_e32 v121, v139
	v_pk_add_f32 v[108:109], v[120:121], v[108:109]
	ds_write2_b64 v166, v[102:103], v[108:109] offset0:2 offset1:3
	v_pk_mul_f32 v[102:103], v[98:99], s[14:15] op_sel_hi:[1,0]
	v_pk_mul_f32 v[108:109], v[112:113], s[34:35] op_sel_hi:[1,0]
	v_pk_fma_f32 v[184:185], v[170:171], s[12:13], v[102:103] op_sel:[0,0,1] op_sel_hi:[1,0,0]
	v_pk_fma_f32 v[144:145], v[170:171], s[12:13], v[102:103] op_sel:[0,0,1] op_sel_hi:[1,0,0] neg_lo:[0,0,1] neg_hi:[0,0,1]
	v_mov_b32_e32 v102, v184
	v_mov_b32_e32 v103, v145
	v_pk_fma_f32 v[186:187], v[172:173], s[16:17], v[108:109] op_sel:[0,0,1] op_sel_hi:[1,0,0]
	v_pk_fma_f32 v[146:147], v[172:173], s[16:17], v[108:109] op_sel:[0,0,1] op_sel_hi:[1,0,0] neg_lo:[0,0,1] neg_hi:[0,0,1]
	v_pk_add_f32 v[102:103], v[96:97], v[102:103]
	v_mov_b32_e32 v108, v186
	v_mov_b32_e32 v109, v147
	v_pk_add_f32 v[102:103], v[108:109], v[102:103]
	v_pk_mul_f32 v[108:109], v[114:115], s[30:31] op_sel_hi:[1,0]
	v_pk_fma_f32 v[180:181], v[172:173], s[10:11], v[180:181] op_sel:[0,0,1] op_sel_hi:[1,0,0] neg_lo:[0,0,1] neg_hi:[0,0,1]
	v_pk_fma_f32 v[164:165], v[174:175], s[0:1], v[108:109] op_sel:[0,0,1] op_sel_hi:[1,0,0]
	v_pk_fma_f32 v[148:149], v[174:175], s[0:1], v[108:109] op_sel:[0,0,1] op_sel_hi:[1,0,0] neg_lo:[0,0,1] neg_hi:[0,0,1]
	v_mov_b32_e32 v108, v164
	v_mov_b32_e32 v109, v149
	v_pk_add_f32 v[102:103], v[108:109], v[102:103]
	v_pk_mul_f32 v[108:109], v[104:105], s[28:29] op_sel_hi:[1,0]
	v_mov_b32_e32 v188, v182
	v_pk_fma_f32 v[142:143], v[118:119], s[10:11], v[108:109] op_sel:[0,0,1] op_sel_hi:[1,0,0]
	v_pk_fma_f32 v[120:121], v[118:119], s[10:11], v[108:109] op_sel:[0,0,1] op_sel_hi:[1,0,0] neg_lo:[0,0,1] neg_hi:[0,0,1]
	v_mov_b32_e32 v108, v142
	v_mov_b32_e32 v109, v121
	v_pk_add_f32 v[102:103], v[108:109], v[102:103]
	v_pk_mul_f32 v[108:109], v[106:107], s[38:39] op_sel_hi:[1,0]
	v_mov_b32_e32 v189, v181
	v_pk_fma_f32 v[204:205], v[116:117], s[22:23], v[108:109] op_sel:[0,0,1] op_sel_hi:[1,0,0]
	v_pk_fma_f32 v[122:123], v[116:117], s[22:23], v[108:109] op_sel:[0,0,1] op_sel_hi:[1,0,0] neg_lo:[0,0,1] neg_hi:[0,0,1]
	v_mov_b32_e32 v108, v204
	v_mov_b32_e32 v109, v123
	v_pk_add_f32 v[102:103], v[108:109], v[102:103]
	v_pk_mul_f32 v[108:109], v[100:101], s[36:37] op_sel_hi:[1,0]
	v_pk_mul_f32 v[112:113], v[112:113], s[30:31] op_sel_hi:[1,0]
	v_pk_fma_f32 v[212:213], v[110:111], s[8:9], v[108:109] op_sel:[0,0,1] op_sel_hi:[1,0,0]
	v_pk_fma_f32 v[208:209], v[110:111], s[8:9], v[108:109] op_sel:[0,0,1] op_sel_hi:[1,0,0] neg_lo:[0,0,1] neg_hi:[0,0,1]
	v_mov_b32_e32 v108, v212
	v_mov_b32_e32 v109, v209
	v_pk_add_f32 v[102:103], v[108:109], v[102:103]
	v_pk_mul_f32 v[108:109], v[98:99], s[18:19] op_sel_hi:[1,0]
	v_pk_mul_f32 v[98:99], v[98:99], s[24:25] op_sel_hi:[1,0]
	v_pk_fma_f32 v[176:177], v[170:171], s[16:17], v[108:109] op_sel:[0,0,1] op_sel_hi:[1,0,0]
	v_pk_fma_f32 v[178:179], v[170:171], s[16:17], v[108:109] op_sel:[0,0,1] op_sel_hi:[1,0,0] neg_lo:[0,0,1] neg_hi:[0,0,1]
	v_mov_b32_e32 v108, v176
	v_mov_b32_e32 v109, v179
	v_pk_add_f32 v[108:109], v[96:97], v[108:109]
	v_mov_b32_e32 v179, v177
	v_pk_add_f32 v[108:109], v[188:189], v[108:109]
	v_pk_mul_f32 v[188:189], v[114:115], s[20:21] op_sel_hi:[1,0]
	v_pk_mul_f32 v[114:115], v[114:115], s[18:19] op_sel_hi:[1,0]
	v_pk_fma_f32 v[162:163], v[174:175], s[8:9], v[188:189] op_sel:[0,0,1] op_sel_hi:[1,0,0]
	v_pk_fma_f32 v[216:217], v[174:175], s[8:9], v[188:189] op_sel:[0,0,1] op_sel_hi:[1,0,0] neg_lo:[0,0,1] neg_hi:[0,0,1]
	v_mov_b32_e32 v188, v162
	v_mov_b32_e32 v189, v217
	v_pk_add_f32 v[108:109], v[188:189], v[108:109]
	v_pk_mul_f32 v[188:189], v[104:105], s[38:39] op_sel_hi:[1,0]
	v_pk_mul_f32 v[104:105], v[104:105], s[36:37] op_sel_hi:[1,0]
	v_pk_fma_f32 v[228:229], v[118:119], s[22:23], v[188:189] op_sel:[0,0,1] op_sel_hi:[1,0,0]
	v_pk_fma_f32 v[224:225], v[118:119], s[22:23], v[188:189] op_sel:[0,0,1] op_sel_hi:[1,0,0] neg_lo:[0,0,1] neg_hi:[0,0,1]
	v_mov_b32_e32 v188, v228
	;; [unrolled: 7-line block ×4, first 2 shown]
	v_mov_b32_e32 v189, v241
	v_pk_add_f32 v[108:109], v[188:189], v[108:109]
	ds_write2_b64 v166, v[102:103], v[108:109] offset0:4 offset1:5
	v_pk_fma_f32 v[102:103], v[170:171], s[22:23], v[98:99] op_sel:[0,0,1] op_sel_hi:[1,0,0]
	v_pk_fma_f32 v[98:99], v[170:171], s[22:23], v[98:99] op_sel:[0,0,1] op_sel_hi:[1,0,0] neg_lo:[0,0,1] neg_hi:[0,0,1]
	v_mov_b32_e32 v108, v102
	v_mov_b32_e32 v109, v99
	v_pk_fma_f32 v[170:171], v[172:173], s[0:1], v[112:113] op_sel:[0,0,1] op_sel_hi:[1,0,0]
	v_pk_fma_f32 v[112:113], v[172:173], s[0:1], v[112:113] op_sel:[0,0,1] op_sel_hi:[1,0,0] neg_lo:[0,0,1] neg_hi:[0,0,1]
	v_pk_add_f32 v[108:109], v[96:97], v[108:109]
	v_mov_b32_e32 v172, v170
	v_mov_b32_e32 v173, v113
	v_pk_add_f32 v[108:109], v[172:173], v[108:109]
	v_pk_fma_f32 v[172:173], v[174:175], s[16:17], v[114:115] op_sel:[0,0,1] op_sel_hi:[1,0,0]
	v_pk_fma_f32 v[114:115], v[174:175], s[16:17], v[114:115] op_sel:[0,0,1] op_sel_hi:[1,0,0] neg_lo:[0,0,1] neg_hi:[0,0,1]
	v_mov_b32_e32 v174, v172
	v_mov_b32_e32 v175, v115
	v_pk_add_f32 v[108:109], v[174:175], v[108:109]
	v_pk_fma_f32 v[174:175], v[118:119], s[8:9], v[104:105] op_sel:[0,0,1] op_sel_hi:[1,0,0]
	v_pk_fma_f32 v[104:105], v[118:119], s[8:9], v[104:105] op_sel:[0,0,1] op_sel_hi:[1,0,0] neg_lo:[0,0,1] neg_hi:[0,0,1]
	;; [unrolled: 5-line block ×4, first 2 shown]
	v_mov_b32_e32 v99, v103
	v_mov_b32_e32 v145, v185
	;; [unrolled: 1-line block ×5, first 2 shown]
	v_pk_add_f32 v[98:99], v[96:97], v[98:99]
	v_mov_b32_e32 v111, v117
	v_mov_b32_e32 v181, v183
	v_pk_add_f32 v[116:117], v[96:97], v[178:179]
	v_mov_b32_e32 v147, v187
	v_pk_add_f32 v[144:145], v[96:97], v[144:145]
	v_pk_add_f32 v[98:99], v[112:113], v[98:99]
	v_mov_b32_e32 v115, v173
	v_mov_b32_e32 v107, v119
	v_pk_add_f32 v[118:119], v[180:181], v[116:117]
	v_mov_b32_e32 v217, v163
	v_pk_add_f32 v[144:145], v[146:147], v[144:145]
	;; [unrolled: 2-line block ×8, first 2 shown]
	v_mov_b32_e32 v123, v205
	v_mov_b32_e32 v99, v36
	v_accvgpr_write_b32 a38, v98
	v_pk_add_f32 v[162:163], v[232:233], v[162:163]
	v_mov_b32_e32 v241, v245
	v_pk_add_f32 v[120:121], v[122:123], v[120:121]
	v_mov_b32_e32 v209, v213
	v_accvgpr_write_b32 a39, v99
	v_mov_b32_e32 v98, v32
	v_pk_add_f32 v[162:163], v[240:241], v[162:163]
	v_pk_add_f32 v[120:121], v[208:209], v[120:121]
	v_mov_b32_e32 v255, v253
	v_mov_b32_e32 v231, v207
	v_accvgpr_read_b32 v207, a55
	v_mov_b32_e32 v99, v32
	v_accvgpr_write_b32 a42, v98
	ds_write2_b64 v166, v[162:163], v[120:121] offset0:8 offset1:9
	v_pk_add_f32 v[120:121], v[96:97], v[254:255]
	v_mov_b32_e32 v153, v125
	v_pk_add_f32 v[122:123], v[96:97], v[230:231]
	v_mov_b32_e32 v235, v211
	v_pk_add_f32 v[96:97], v[96:97], v[206:207]
	v_accvgpr_read_b32 v211, a57
	v_accvgpr_write_b32 a43, v99
	v_mov_b32_e32 v98, v44
	v_pk_add_f32 v[120:121], v[152:153], v[120:121]
	v_mov_b32_e32 v127, v129
	v_pk_add_f32 v[122:123], v[234:235], v[122:123]
	v_mov_b32_e32 v239, v215
	v_pk_add_f32 v[96:97], v[210:211], v[96:97]
	v_accvgpr_read_b32 v215, a59
	v_mov_b32_e32 v99, v44
	v_accvgpr_write_b32 a46, v98
	v_pk_add_f32 v[120:121], v[126:127], v[120:121]
	v_mov_b32_e32 v131, v133
	v_pk_add_f32 v[122:123], v[238:239], v[122:123]
	v_mov_b32_e32 v243, v219
	v_pk_add_f32 v[96:97], v[214:215], v[96:97]
	v_accvgpr_read_b32 v219, a61
	v_accvgpr_write_b32 a47, v99
	v_mov_b32_e32 v98, v40
	v_pk_add_f32 v[120:121], v[130:131], v[120:121]
	v_mov_b32_e32 v135, v137
	v_pk_add_f32 v[122:123], v[242:243], v[122:123]
	;; [unrolled: 2-line block ×3, first 2 shown]
	v_accvgpr_read_b32 v223, a63
	v_pk_add_f32 v[106:107], v[106:107], v[102:103]
	v_mov_b32_e32 v99, v40
	v_accvgpr_write_b32 a48, v98
	v_pk_add_f32 v[120:121], v[134:135], v[120:121]
	v_mov_b32_e32 v139, v141
	v_pk_add_f32 v[122:123], v[246:247], v[122:123]
	v_mov_b32_e32 v251, v227
	v_pk_add_f32 v[96:97], v[222:223], v[96:97]
	v_accvgpr_read_b32 v227, a65
	v_mov_b32_e32 v160, v4
	v_mov_b32_e32 v161, v4
	;; [unrolled: 1-line block ×13, first 2 shown]
	v_accvgpr_write_b32 a34, v30
	v_accvgpr_write_b32 a35, v30
	v_mov_b32_e32 v30, v31
	v_mov_b32_e32 v20, v21
	v_accvgpr_write_b32 a30, v22
	v_accvgpr_write_b32 a31, v22
	v_mov_b32_e32 v22, v23
	v_mov_b32_e32 v188, v24
	;; [unrolled: 1-line block ×4, first 2 shown]
	v_pk_add_f32 v[108:109], v[100:101], v[108:109]
	v_mov_b32_e32 v196, v26
	v_mov_b32_e32 v197, v26
	;; [unrolled: 1-line block ×22, first 2 shown]
	v_accvgpr_write_b32 a40, v38
	v_accvgpr_write_b32 a41, v38
	v_mov_b32_e32 v38, v39
	v_mov_b32_e32 v32, v33
	v_accvgpr_write_b32 a44, v34
	v_accvgpr_write_b32 a45, v34
	v_mov_b32_e32 v34, v35
	v_pk_add_f32 v[110:111], v[110:111], v[106:107]
	v_mov_b32_e32 v44, v45
	v_accvgpr_write_b32 a50, v46
	v_accvgpr_write_b32 a51, v46
	v_mov_b32_e32 v46, v47
	v_accvgpr_write_b32 a49, v99
	v_mov_b32_e32 v40, v41
	v_accvgpr_write_b32 a52, v42
	v_accvgpr_write_b32 a53, v42
	v_mov_b32_e32 v42, v43
	v_mov_b32_e32 v114, v60
	;; [unrolled: 1-line block ×37, first 2 shown]
	v_add_u32_e32 v142, 0x1a0, v220
	v_pk_add_f32 v[120:121], v[138:139], v[120:121]
	v_pk_add_f32 v[122:123], v[250:251], v[122:123]
	;; [unrolled: 1-line block ×3, first 2 shown]
	ds_write2_b64 v166, v[108:109], v[110:111] offset0:6 offset1:7
	ds_write2_b64 v166, v[120:121], v[122:123] offset0:10 offset1:11
	ds_write_b64 v166, v[96:97] offset:96
	s_and_saveexec_b64 s[44:45], vcc
	s_cbranch_execz .LBB0_13
; %bb.12:
	v_pk_add_f32 v[96:97], v[74:75], v[72:73]
	v_pk_add_f32 v[148:149], v[74:75], v[150:151] neg_lo:[0,1] neg_hi:[0,1]
	v_pk_add_f32 v[96:97], v[76:77], v[96:97]
	v_pk_add_f32 v[146:147], v[150:151], v[74:75]
	v_pk_add_f32 v[96:97], v[78:79], v[96:97]
	v_pk_add_f32 v[152:153], v[94:95], v[76:77]
	v_pk_add_f32 v[96:97], v[84:85], v[96:97]
	v_pk_add_f32 v[162:163], v[76:77], v[94:95] neg_lo:[0,1] neg_hi:[0,1]
	v_pk_add_f32 v[96:97], v[86:87], v[96:97]
	v_pk_mul_f32 v[76:77], v[148:149], s[40:41] op_sel_hi:[1,0]
	v_pk_add_f32 v[96:97], v[80:81], v[96:97]
	v_pk_add_f32 v[204:205], v[92:93], v[78:79]
	v_pk_add_f32 v[206:207], v[78:79], v[92:93] neg_lo:[0,1] neg_hi:[0,1]
	v_pk_add_f32 v[144:145], v[82:83], v[80:81]
	v_pk_add_f32 v[216:217], v[80:81], v[82:83] neg_lo:[0,1] neg_hi:[0,1]
	v_pk_fma_f32 v[78:79], v[146:147], s[0:1], v[76:77] op_sel:[0,0,1] op_sel_hi:[1,0,0]
	v_pk_fma_f32 v[76:77], v[146:147], s[0:1], v[76:77] op_sel:[0,0,1] op_sel_hi:[1,0,0] neg_lo:[0,0,1] neg_hi:[0,0,1]
	v_pk_mul_f32 v[80:81], v[162:163], s[20:21] op_sel_hi:[1,0]
	v_accvgpr_read_b32 v98, a21
	v_pk_add_f32 v[208:209], v[90:91], v[84:85]
	v_pk_add_f32 v[210:211], v[84:85], v[90:91] neg_lo:[0,1] neg_hi:[0,1]
	v_accvgpr_write_b32 a21, v79
	v_mov_b32_e32 v79, v77
	v_pk_fma_f32 v[84:85], v[152:153], s[8:9], v[80:81] op_sel:[0,0,1] op_sel_hi:[1,0,0]
	v_pk_fma_f32 v[80:81], v[152:153], s[8:9], v[80:81] op_sel:[0,0,1] op_sel_hi:[1,0,0] neg_lo:[0,0,1] neg_hi:[0,0,1]
	v_pk_add_f32 v[96:97], v[82:83], v[96:97]
	v_pk_add_f32 v[82:83], v[72:73], v[78:79]
	v_accvgpr_write_b32 a55, v85
	v_mov_b32_e32 v85, v81
	v_pk_add_f32 v[212:213], v[88:89], v[86:87]
	v_pk_add_f32 v[214:215], v[86:87], v[88:89] neg_lo:[0,1] neg_hi:[0,1]
	v_pk_add_f32 v[86:87], v[84:85], v[82:83]
	v_pk_mul_f32 v[84:85], v[206:207], s[28:29] op_sel_hi:[1,0]
	v_pk_add_f32 v[96:97], v[88:89], v[96:97]
	v_pk_fma_f32 v[88:89], v[204:205], s[10:11], v[84:85] op_sel:[0,0,1] op_sel_hi:[1,0,0]
	v_pk_fma_f32 v[84:85], v[204:205], s[10:11], v[84:85] op_sel:[0,0,1] op_sel_hi:[1,0,0] neg_lo:[0,0,1] neg_hi:[0,0,1]
	v_accvgpr_write_b32 a57, v89
	v_mov_b32_e32 v89, v85
	v_pk_add_f32 v[96:97], v[90:91], v[96:97]
	v_pk_add_f32 v[90:91], v[88:89], v[86:87]
	v_pk_mul_f32 v[88:89], v[210:211], s[14:15] op_sel_hi:[1,0]
	v_pk_add_f32 v[96:97], v[92:93], v[96:97]
	v_pk_fma_f32 v[92:93], v[208:209], s[12:13], v[88:89] op_sel:[0,0,1] op_sel_hi:[1,0,0]
	v_pk_fma_f32 v[88:89], v[208:209], s[12:13], v[88:89] op_sel:[0,0,1] op_sel_hi:[1,0,0] neg_lo:[0,0,1] neg_hi:[0,0,1]
	v_accvgpr_write_b32 a59, v93
	v_mov_b32_e32 v93, v89
	v_pk_add_f32 v[96:97], v[94:95], v[96:97]
	;; [unrolled: 8-line block ×3, first 2 shown]
	v_pk_mul_f32 v[96:97], v[216:217], s[24:25] op_sel_hi:[1,0]
	v_lshl_add_u32 v221, v98, 3, v221
	v_pk_fma_f32 v[124:125], v[144:145], s[22:23], v[96:97] op_sel:[0,0,1] op_sel_hi:[1,0,0]
	v_pk_fma_f32 v[96:97], v[144:145], s[22:23], v[96:97] op_sel:[0,0,1] op_sel_hi:[1,0,0] neg_lo:[0,0,1] neg_hi:[0,0,1]
	v_accvgpr_write_b32 a63, v125
	v_mov_b32_e32 v125, v97
	v_pk_add_f32 v[122:123], v[124:125], v[122:123]
	ds_write2_b64 v221, v[120:121], v[122:123] offset1:1
	v_pk_mul_f32 v[122:123], v[148:149], s[20:21] op_sel_hi:[1,0]
	v_pk_mul_f32 v[126:127], v[162:163], s[14:15] op_sel_hi:[1,0]
	v_pk_fma_f32 v[124:125], v[146:147], s[8:9], v[122:123] op_sel:[0,0,1] op_sel_hi:[1,0,0]
	v_pk_fma_f32 v[122:123], v[146:147], s[8:9], v[122:123] op_sel:[0,0,1] op_sel_hi:[1,0,0] neg_lo:[0,0,1] neg_hi:[0,0,1]
	v_mov_b32_e32 v97, v125
	v_mov_b32_e32 v125, v123
	v_pk_fma_f32 v[130:131], v[152:153], s[12:13], v[126:127] op_sel:[0,0,1] op_sel_hi:[1,0,0]
	v_pk_fma_f32 v[126:127], v[152:153], s[12:13], v[126:127] op_sel:[0,0,1] op_sel_hi:[1,0,0] neg_lo:[0,0,1] neg_hi:[0,0,1]
	v_pk_add_f32 v[128:129], v[72:73], v[124:125]
	v_accvgpr_write_b32 a65, v131
	v_mov_b32_e32 v131, v127
	v_pk_add_f32 v[132:133], v[130:131], v[128:129]
	v_pk_mul_f32 v[130:131], v[206:207], s[24:25] op_sel_hi:[1,0]
	v_mov_b32_e32 v93, v142
	v_pk_fma_f32 v[134:135], v[204:205], s[22:23], v[130:131] op_sel:[0,0,1] op_sel_hi:[1,0,0]
	v_pk_fma_f32 v[130:131], v[204:205], s[22:23], v[130:131] op_sel:[0,0,1] op_sel_hi:[1,0,0] neg_lo:[0,0,1] neg_hi:[0,0,1]
	v_accvgpr_write_b32 a67, v135
	v_mov_b32_e32 v135, v131
	v_pk_add_f32 v[136:137], v[134:135], v[132:133]
	v_pk_mul_f32 v[134:135], v[210:211], s[34:35] op_sel_hi:[1,0]
	v_pk_mul_f32 v[228:229], v[162:163], s[24:25] op_sel_hi:[1,0]
	v_pk_fma_f32 v[132:133], v[208:209], s[16:17], v[134:135] op_sel:[0,0,1] op_sel_hi:[1,0,0]
	v_pk_fma_f32 v[134:135], v[208:209], s[16:17], v[134:135] op_sel:[0,0,1] op_sel_hi:[1,0,0] neg_lo:[0,0,1] neg_hi:[0,0,1]
	v_mov_b32_e32 v138, v132
	v_mov_b32_e32 v139, v135
	v_pk_add_f32 v[140:141], v[138:139], v[136:137]
	v_pk_mul_f32 v[138:139], v[214:215], s[26:27] op_sel_hi:[1,0]
	v_pk_fma_f32 v[230:231], v[152:153], s[22:23], v[228:229] op_sel:[0,0,1] op_sel_hi:[1,0,0]
	v_pk_fma_f32 v[136:137], v[212:213], s[10:11], v[138:139] op_sel:[0,0,1] op_sel_hi:[1,0,0]
	v_pk_fma_f32 v[138:139], v[212:213], s[10:11], v[138:139] op_sel:[0,0,1] op_sel_hi:[1,0,0] neg_lo:[0,0,1] neg_hi:[0,0,1]
	v_mov_b32_e32 v142, v136
	v_mov_b32_e32 v143, v139
	v_pk_add_f32 v[218:219], v[142:143], v[140:141]
	v_pk_mul_f32 v[142:143], v[216:217], s[30:31] op_sel_hi:[1,0]
	v_pk_fma_f32 v[228:229], v[152:153], s[22:23], v[228:229] op_sel:[0,0,1] op_sel_hi:[1,0,0] neg_lo:[0,0,1] neg_hi:[0,0,1]
	v_pk_fma_f32 v[140:141], v[144:145], s[0:1], v[142:143] op_sel:[0,0,1] op_sel_hi:[1,0,0]
	v_pk_fma_f32 v[142:143], v[144:145], s[0:1], v[142:143] op_sel:[0,0,1] op_sel_hi:[1,0,0] neg_lo:[0,0,1] neg_hi:[0,0,1]
	v_mov_b32_e32 v222, v140
	v_mov_b32_e32 v223, v143
	v_pk_add_f32 v[218:219], v[222:223], v[218:219]
	v_pk_mul_f32 v[222:223], v[148:149], s[28:29] op_sel_hi:[1,0]
	v_mov_b32_e32 v232, v230
	v_pk_fma_f32 v[224:225], v[146:147], s[10:11], v[222:223] op_sel:[0,0,1] op_sel_hi:[1,0,0]
	v_pk_fma_f32 v[222:223], v[146:147], s[10:11], v[222:223] op_sel:[0,0,1] op_sel_hi:[1,0,0] neg_lo:[0,0,1] neg_hi:[0,0,1]
	v_mov_b32_e32 v226, v224
	v_mov_b32_e32 v227, v223
	v_pk_add_f32 v[226:227], v[72:73], v[226:227]
	v_mov_b32_e32 v233, v229
	v_pk_add_f32 v[226:227], v[232:233], v[226:227]
	v_pk_mul_f32 v[232:233], v[206:207], s[42:43] op_sel_hi:[1,0]
	v_pk_mul_f32 v[252:253], v[162:163], s[34:35] op_sel_hi:[1,0]
	v_pk_fma_f32 v[234:235], v[204:205], s[12:13], v[232:233] op_sel:[0,0,1] op_sel_hi:[1,0,0]
	v_pk_fma_f32 v[232:233], v[204:205], s[12:13], v[232:233] op_sel:[0,0,1] op_sel_hi:[1,0,0] neg_lo:[0,0,1] neg_hi:[0,0,1]
	v_mov_b32_e32 v236, v234
	v_mov_b32_e32 v237, v233
	v_pk_add_f32 v[226:227], v[236:237], v[226:227]
	v_pk_mul_f32 v[236:237], v[210:211], s[30:31] op_sel_hi:[1,0]
	v_pk_fma_f32 v[128:129], v[152:153], s[16:17], v[252:253] op_sel:[0,0,1] op_sel_hi:[1,0,0]
	v_pk_fma_f32 v[238:239], v[208:209], s[0:1], v[236:237] op_sel:[0,0,1] op_sel_hi:[1,0,0]
	v_pk_fma_f32 v[236:237], v[208:209], s[0:1], v[236:237] op_sel:[0,0,1] op_sel_hi:[1,0,0] neg_lo:[0,0,1] neg_hi:[0,0,1]
	v_mov_b32_e32 v240, v238
	v_mov_b32_e32 v241, v237
	v_pk_add_f32 v[226:227], v[240:241], v[226:227]
	v_pk_mul_f32 v[240:241], v[214:215], s[20:21] op_sel_hi:[1,0]
	v_pk_fma_f32 v[252:253], v[152:153], s[16:17], v[252:253] op_sel:[0,0,1] op_sel_hi:[1,0,0] neg_lo:[0,0,1] neg_hi:[0,0,1]
	v_pk_fma_f32 v[242:243], v[212:213], s[8:9], v[240:241] op_sel:[0,0,1] op_sel_hi:[1,0,0]
	v_pk_fma_f32 v[240:241], v[212:213], s[8:9], v[240:241] op_sel:[0,0,1] op_sel_hi:[1,0,0] neg_lo:[0,0,1] neg_hi:[0,0,1]
	v_mov_b32_e32 v244, v242
	v_mov_b32_e32 v245, v241
	v_pk_add_f32 v[226:227], v[244:245], v[226:227]
	v_pk_mul_f32 v[244:245], v[216:217], s[18:19] op_sel_hi:[1,0]
	v_mov_b32_e32 v254, v128
	v_pk_fma_f32 v[246:247], v[144:145], s[16:17], v[244:245] op_sel:[0,0,1] op_sel_hi:[1,0,0]
	v_pk_fma_f32 v[244:245], v[144:145], s[16:17], v[244:245] op_sel:[0,0,1] op_sel_hi:[1,0,0] neg_lo:[0,0,1] neg_hi:[0,0,1]
	v_mov_b32_e32 v250, v246
	v_mov_b32_e32 v251, v245
	v_pk_add_f32 v[226:227], v[250:251], v[226:227]
	ds_write2_b64 v221, v[218:219], v[226:227] offset0:2 offset1:3
	v_pk_mul_f32 v[218:219], v[148:149], s[14:15] op_sel_hi:[1,0]
	v_mov_b32_e32 v255, v253
	v_pk_fma_f32 v[226:227], v[146:147], s[12:13], v[218:219] op_sel:[0,0,1] op_sel_hi:[1,0,0]
	v_pk_fma_f32 v[218:219], v[146:147], s[12:13], v[218:219] op_sel:[0,0,1] op_sel_hi:[1,0,0] neg_lo:[0,0,1] neg_hi:[0,0,1]
	v_mov_b32_e32 v250, v226
	v_mov_b32_e32 v251, v219
	v_pk_add_f32 v[250:251], v[72:73], v[250:251]
	v_mov_b32_e32 v89, v249
	v_pk_add_f32 v[250:251], v[254:255], v[250:251]
	v_pk_mul_f32 v[254:255], v[206:207], s[30:31] op_sel_hi:[1,0]
	v_mov_b32_e32 v77, v167
	v_pk_fma_f32 v[124:125], v[204:205], s[0:1], v[254:255] op_sel:[0,0,1] op_sel_hi:[1,0,0]
	v_pk_fma_f32 v[254:255], v[204:205], s[0:1], v[254:255] op_sel:[0,0,1] op_sel_hi:[1,0,0] neg_lo:[0,0,1] neg_hi:[0,0,1]
	v_mov_b32_e32 v74, v124
	v_mov_b32_e32 v75, v255
	v_pk_add_f32 v[74:75], v[74:75], v[250:251]
	v_pk_mul_f32 v[250:251], v[210:211], s[28:29] op_sel_hi:[1,0]
	v_mov_b32_e32 v124, v248
	v_pk_fma_f32 v[120:121], v[208:209], s[10:11], v[250:251] op_sel:[0,0,1] op_sel_hi:[1,0,0]
	v_pk_fma_f32 v[250:251], v[208:209], s[10:11], v[250:251] op_sel:[0,0,1] op_sel_hi:[1,0,0] neg_lo:[0,0,1] neg_hi:[0,0,1]
	v_mov_b32_e32 v248, v120
	v_mov_b32_e32 v249, v251
	v_pk_add_f32 v[74:75], v[248:249], v[74:75]
	v_pk_mul_f32 v[248:249], v[214:215], s[38:39] op_sel_hi:[1,0]
	v_mov_b32_e32 v81, v168
	v_pk_fma_f32 v[94:95], v[212:213], s[22:23], v[248:249] op_sel:[0,0,1] op_sel_hi:[1,0,0]
	v_pk_fma_f32 v[248:249], v[212:213], s[22:23], v[248:249] op_sel:[0,0,1] op_sel_hi:[1,0,0] neg_lo:[0,0,1] neg_hi:[0,0,1]
	v_mov_b32_e32 v164, v94
	v_mov_b32_e32 v165, v249
	v_pk_add_f32 v[74:75], v[164:165], v[74:75]
	v_pk_mul_f32 v[164:165], v[216:217], s[36:37] op_sel_hi:[1,0]
	v_mov_b32_e32 v85, v169
	v_pk_fma_f32 v[90:91], v[144:145], s[8:9], v[164:165] op_sel:[0,0,1] op_sel_hi:[1,0,0]
	v_pk_fma_f32 v[164:165], v[144:145], s[8:9], v[164:165] op_sel:[0,0,1] op_sel_hi:[1,0,0] neg_lo:[0,0,1] neg_hi:[0,0,1]
	v_mov_b32_e32 v78, v90
	v_mov_b32_e32 v79, v165
	v_pk_add_f32 v[74:75], v[78:79], v[74:75]
	v_pk_mul_f32 v[78:79], v[148:149], s[18:19] op_sel_hi:[1,0]
	v_pk_mul_f32 v[168:169], v[162:163], s[26:27] op_sel_hi:[1,0]
	v_pk_fma_f32 v[166:167], v[146:147], s[16:17], v[78:79] op_sel:[0,0,1] op_sel_hi:[1,0,0]
	v_pk_fma_f32 v[78:79], v[146:147], s[16:17], v[78:79] op_sel:[0,0,1] op_sel_hi:[1,0,0] neg_lo:[0,0,1] neg_hi:[0,0,1]
	v_mov_b32_e32 v100, v166
	v_mov_b32_e32 v101, v79
	v_pk_fma_f32 v[86:87], v[152:153], s[10:11], v[168:169] op_sel:[0,0,1] op_sel_hi:[1,0,0]
	v_pk_fma_f32 v[168:169], v[152:153], s[10:11], v[168:169] op_sel:[0,0,1] op_sel_hi:[1,0,0] neg_lo:[0,0,1] neg_hi:[0,0,1]
	v_pk_add_f32 v[100:101], v[72:73], v[100:101]
	v_mov_b32_e32 v82, v86
	v_mov_b32_e32 v83, v169
	v_pk_add_f32 v[82:83], v[82:83], v[100:101]
	v_pk_mul_f32 v[100:101], v[206:207], s[20:21] op_sel_hi:[1,0]
	v_mov_b32_e32 v79, v167
	v_pk_fma_f32 v[150:151], v[204:205], s[8:9], v[100:101] op_sel:[0,0,1] op_sel_hi:[1,0,0]
	v_pk_fma_f32 v[100:101], v[204:205], s[8:9], v[100:101] op_sel:[0,0,1] op_sel_hi:[1,0,0] neg_lo:[0,0,1] neg_hi:[0,0,1]
	v_mov_b32_e32 v104, v150
	v_mov_b32_e32 v105, v101
	v_pk_add_f32 v[82:83], v[104:105], v[82:83]
	v_pk_mul_f32 v[104:105], v[210:211], s[38:39] op_sel_hi:[1,0]
	v_mov_b32_e32 v219, v227
	v_pk_fma_f32 v[102:103], v[208:209], s[22:23], v[104:105] op_sel:[0,0,1] op_sel_hi:[1,0,0]
	v_pk_fma_f32 v[104:105], v[208:209], s[22:23], v[104:105] op_sel:[0,0,1] op_sel_hi:[1,0,0] neg_lo:[0,0,1] neg_hi:[0,0,1]
	;; [unrolled: 7-line block ×4, first 2 shown]
	v_mov_b32_e32 v112, v108
	v_mov_b32_e32 v113, v111
	v_pk_add_f32 v[82:83], v[112:113], v[82:83]
	ds_write2_b64 v221, v[74:75], v[82:83] offset0:4 offset1:5
	v_pk_mul_f32 v[74:75], v[148:149], s[24:25] op_sel_hi:[1,0]
	v_mov_b32_e32 v101, v151
	v_pk_fma_f32 v[82:83], v[146:147], s[22:23], v[74:75] op_sel:[0,0,1] op_sel_hi:[1,0,0]
	v_pk_fma_f32 v[74:75], v[146:147], s[22:23], v[74:75] op_sel:[0,0,1] op_sel_hi:[1,0,0] neg_lo:[0,0,1] neg_hi:[0,0,1]
	v_pk_mul_f32 v[146:147], v[162:163], s[30:31] op_sel_hi:[1,0]
	v_mov_b32_e32 v112, v82
	v_mov_b32_e32 v113, v75
	v_pk_fma_f32 v[148:149], v[152:153], s[0:1], v[146:147] op_sel:[0,0,1] op_sel_hi:[1,0,0]
	v_pk_fma_f32 v[146:147], v[152:153], s[0:1], v[146:147] op_sel:[0,0,1] op_sel_hi:[1,0,0] neg_lo:[0,0,1] neg_hi:[0,0,1]
	v_pk_add_f32 v[112:113], v[72:73], v[112:113]
	v_mov_b32_e32 v152, v148
	v_mov_b32_e32 v153, v147
	v_pk_add_f32 v[112:113], v[152:153], v[112:113]
	v_pk_mul_f32 v[152:153], v[206:207], s[18:19] op_sel_hi:[1,0]
	v_mov_b32_e32 v75, v83
	v_pk_fma_f32 v[162:163], v[204:205], s[16:17], v[152:153] op_sel:[0,0,1] op_sel_hi:[1,0,0]
	v_pk_fma_f32 v[152:153], v[204:205], s[16:17], v[152:153] op_sel:[0,0,1] op_sel_hi:[1,0,0] neg_lo:[0,0,1] neg_hi:[0,0,1]
	v_mov_b32_e32 v204, v162
	v_mov_b32_e32 v205, v153
	v_pk_add_f32 v[112:113], v[204:205], v[112:113]
	v_pk_mul_f32 v[204:205], v[210:211], s[36:37] op_sel_hi:[1,0]
	v_pk_add_f32 v[74:75], v[72:73], v[74:75]
	v_pk_fma_f32 v[206:207], v[208:209], s[8:9], v[204:205] op_sel:[0,0,1] op_sel_hi:[1,0,0]
	v_pk_fma_f32 v[204:205], v[208:209], s[8:9], v[204:205] op_sel:[0,0,1] op_sel_hi:[1,0,0] neg_lo:[0,0,1] neg_hi:[0,0,1]
	v_mov_b32_e32 v208, v206
	v_mov_b32_e32 v209, v205
	v_pk_add_f32 v[112:113], v[208:209], v[112:113]
	v_pk_mul_f32 v[208:209], v[214:215], s[14:15] op_sel_hi:[1,0]
	v_mov_b32_e32 v147, v149
	v_pk_fma_f32 v[210:211], v[212:213], s[12:13], v[208:209] op_sel:[0,0,1] op_sel_hi:[1,0,0]
	v_pk_fma_f32 v[208:209], v[212:213], s[12:13], v[208:209] op_sel:[0,0,1] op_sel_hi:[1,0,0] neg_lo:[0,0,1] neg_hi:[0,0,1]
	v_mov_b32_e32 v212, v210
	v_mov_b32_e32 v213, v209
	v_pk_add_f32 v[74:75], v[146:147], v[74:75]
	v_mov_b32_e32 v153, v163
	v_pk_add_f32 v[112:113], v[212:213], v[112:113]
	v_pk_mul_f32 v[212:213], v[216:217], s[26:27] op_sel_hi:[1,0]
	v_pk_add_f32 v[74:75], v[152:153], v[74:75]
	v_mov_b32_e32 v205, v207
	v_pk_fma_f32 v[214:215], v[144:145], s[10:11], v[212:213] op_sel:[0,0,1] op_sel_hi:[1,0,0]
	v_pk_fma_f32 v[144:145], v[144:145], s[10:11], v[212:213] op_sel:[0,0,1] op_sel_hi:[1,0,0] neg_lo:[0,0,1] neg_hi:[0,0,1]
	v_pk_add_f32 v[74:75], v[204:205], v[74:75]
	v_mov_b32_e32 v209, v211
	v_mov_b32_e32 v212, v214
	;; [unrolled: 1-line block ×3, first 2 shown]
	v_pk_add_f32 v[74:75], v[208:209], v[74:75]
	v_mov_b32_e32 v145, v215
	v_pk_add_f32 v[112:113], v[212:213], v[112:113]
	v_pk_add_f32 v[74:75], v[144:145], v[74:75]
	ds_write2_b64 v221, v[112:113], v[74:75] offset0:6 offset1:7
	v_pk_add_f32 v[74:75], v[72:73], v[78:79]
	v_pk_add_f32 v[78:79], v[72:73], v[218:219]
	;; [unrolled: 1-line block ×4, first 2 shown]
	v_mov_b32_e32 v255, v125
	v_pk_add_f32 v[74:75], v[100:101], v[74:75]
	v_mov_b32_e32 v105, v103
	v_pk_add_f32 v[78:79], v[254:255], v[78:79]
	;; [unrolled: 2-line block ×7, first 2 shown]
	v_pk_add_f32 v[78:79], v[164:165], v[78:79]
	v_mov_b32_e32 v123, v97
	ds_write2_b64 v221, v[74:75], v[78:79] offset0:8 offset1:9
	v_pk_add_f32 v[78:79], v[72:73], v[122:123]
	v_accvgpr_read_b32 v127, a65
	v_mov_b32_e32 v167, v77
	v_mov_b32_e32 v223, v225
	v_pk_add_f32 v[78:79], v[126:127], v[78:79]
	v_accvgpr_read_b32 v131, a67
	v_accvgpr_read_b32 v77, a21
	v_mov_b32_e32 v168, v81
	v_pk_add_f32 v[74:75], v[72:73], v[222:223]
	v_mov_b32_e32 v229, v231
	v_pk_add_f32 v[78:79], v[130:131], v[78:79]
	v_mov_b32_e32 v135, v133
	v_pk_add_f32 v[72:73], v[72:73], v[76:77]
	v_accvgpr_read_b32 v81, a55
	v_mov_b32_e32 v169, v85
	v_pk_add_f32 v[74:75], v[228:229], v[74:75]
	v_mov_b32_e32 v233, v235
	v_pk_add_f32 v[78:79], v[134:135], v[78:79]
	v_mov_b32_e32 v139, v137
	v_pk_add_f32 v[72:73], v[80:81], v[72:73]
	;; [unrolled: 7-line block ×3, first 2 shown]
	v_accvgpr_read_b32 v89, a59
	v_pk_add_f32 v[74:75], v[236:237], v[74:75]
	v_mov_b32_e32 v241, v243
	v_pk_add_f32 v[78:79], v[142:143], v[78:79]
	v_mov_b32_e32 v142, v93
	v_pk_add_f32 v[72:73], v[88:89], v[72:73]
	v_accvgpr_read_b32 v93, a61
	v_pk_add_f32 v[74:75], v[240:241], v[74:75]
	v_mov_b32_e32 v245, v247
	v_pk_add_f32 v[72:73], v[92:93], v[72:73]
	v_accvgpr_read_b32 v97, a63
	v_mov_b32_e32 v248, v124
	v_pk_add_f32 v[74:75], v[244:245], v[74:75]
	v_pk_add_f32 v[72:73], v[96:97], v[72:73]
	ds_write2_b64 v221, v[74:75], v[78:79] offset0:10 offset1:11
	ds_write_b64 v221, v[72:73] offset:96
.LBB0_13:
	s_or_b64 exec, exec, s[44:45]
	s_waitcnt lgkmcnt(0)
	; wave barrier
	s_waitcnt lgkmcnt(0)
	ds_read2_b64 v[82:85], v220 offset1:13
	ds_read2_b64 v[72:75], v220 offset0:52 offset1:65
	ds_read2_b64 v[86:89], v220 offset0:130 offset1:143
	;; [unrolled: 1-line block ×3, first 2 shown]
	v_add_u32_e32 v80, 0x800, v220
	ds_read2_b64 v[94:97], v80 offset0:4 offset1:17
	s_waitcnt lgkmcnt(3)
	v_pk_mul_f32 v[98:99], v[4:5], v[74:75]
	v_mov_b32_e32 v76, s2
	v_pk_fma_f32 v[100:101], v[160:161], v[74:75], v[98:99] op_sel:[0,0,1] op_sel_hi:[1,1,0]
	v_pk_fma_f32 v[74:75], v[160:161], v[74:75], v[98:99] op_sel:[0,0,1] op_sel_hi:[1,1,0] neg_lo:[0,0,1] neg_hi:[0,0,1]
	v_accvgpr_read_b32 v140, a20
	v_mov_b32_e32 v101, v75
	s_waitcnt lgkmcnt(2)
	v_pk_mul_f32 v[74:75], v[6:7], v[86:87]
	s_mov_b32 s2, 0x3f737871
	v_pk_fma_f32 v[98:99], v[158:159], v[86:87], v[74:75] op_sel:[0,0,1] op_sel_hi:[1,1,0]
	v_pk_fma_f32 v[74:75], v[158:159], v[86:87], v[74:75] op_sel:[0,0,1] op_sel_hi:[1,1,0] neg_lo:[0,0,1] neg_hi:[0,0,1]
	v_mad_u64_u32 v[78:79], s[0:1], s6, v140, 0
	v_mov_b32_e32 v99, v75
	s_waitcnt lgkmcnt(1)
	v_pk_mul_f32 v[74:75], v[0:1], v[92:93]
	s_mov_b32 s6, 0x3f167918
	v_pk_fma_f32 v[86:87], v[156:157], v[92:93], v[74:75] op_sel:[0,0,1] op_sel_hi:[1,1,0]
	v_pk_fma_f32 v[74:75], v[156:157], v[92:93], v[74:75] op_sel:[0,0,1] op_sel_hi:[1,1,0] neg_lo:[0,0,1] neg_hi:[0,0,1]
	v_pk_add_f32 v[110:111], v[100:101], v[98:99] neg_lo:[0,1] neg_hi:[0,1]
	v_mov_b32_e32 v87, v75
	s_waitcnt lgkmcnt(0)
	v_pk_mul_f32 v[74:75], v[2:3], v[94:95]
	v_pk_add_f32 v[106:107], v[98:99], v[86:87] neg_lo:[0,1] neg_hi:[0,1]
	v_pk_fma_f32 v[92:93], v[154:155], v[94:95], v[74:75] op_sel:[0,0,1] op_sel_hi:[1,1,0]
	v_pk_fma_f32 v[74:75], v[154:155], v[94:95], v[74:75] op_sel:[0,0,1] op_sel_hi:[1,1,0] neg_lo:[0,0,1] neg_hi:[0,0,1]
	v_pk_add_f32 v[94:95], v[98:99], v[86:87]
	v_mov_b32_e32 v93, v75
	v_pk_add_f32 v[102:103], v[100:101], v[92:93] neg_lo:[0,1] neg_hi:[0,1]
	v_pk_fma_f32 v[94:95], v[94:95], 0.5, v[82:83] op_sel_hi:[1,0,1] neg_lo:[1,0,0] neg_hi:[1,0,0]
	v_pk_mul_f32 v[104:105], v[102:103], s[2:3] op_sel_hi:[1,0]
	v_pk_add_f32 v[112:113], v[92:93], v[86:87] neg_lo:[0,1] neg_hi:[0,1]
	v_pk_mul_f32 v[108:109], v[106:107], s[6:7] op_sel_hi:[1,0]
	v_pk_add_f32 v[110:111], v[110:111], v[112:113]
	v_pk_add_f32 v[112:113], v[94:95], v[104:105] op_sel:[0,1] op_sel_hi:[1,0] neg_lo:[0,1] neg_hi:[0,1]
	v_pk_add_f32 v[94:95], v[94:95], v[104:105] op_sel:[0,1] op_sel_hi:[1,0]
	v_pk_add_f32 v[74:75], v[82:83], v[100:101]
	v_pk_add_f32 v[104:105], v[94:95], v[108:109] op_sel:[0,1] op_sel_hi:[1,0]
	v_pk_add_f32 v[108:109], v[112:113], v[108:109] op_sel:[0,1] op_sel_hi:[1,0] neg_lo:[0,1] neg_hi:[0,1]
	v_pk_add_f32 v[74:75], v[74:75], v[98:99]
	s_mov_b32 s0, 0x3e9e377a
	v_mov_b32_e32 v94, v108
	v_mov_b32_e32 v95, v105
	v_pk_add_f32 v[74:75], v[74:75], v[86:87]
	v_pk_fma_f32 v[112:113], v[110:111], s[0:1], v[94:95] op_sel_hi:[1,0,1]
	v_pk_add_f32 v[94:95], v[100:101], v[92:93]
	v_pk_add_f32 v[74:75], v[74:75], v[92:93]
	v_pk_fma_f32 v[82:83], v[94:95], 0.5, v[82:83] op_sel_hi:[1,0,1] neg_lo:[1,0,0] neg_hi:[1,0,0]
	v_pk_add_f32 v[94:95], v[98:99], v[100:101] neg_lo:[0,1] neg_hi:[0,1]
	v_pk_add_f32 v[86:87], v[86:87], v[92:93] neg_lo:[0,1] neg_hi:[0,1]
	v_pk_mul_f32 v[92:93], v[106:107], s[2:3] op_sel_hi:[1,0]
	v_pk_add_f32 v[86:87], v[94:95], v[86:87]
	v_pk_mul_f32 v[94:95], v[102:103], s[6:7] op_sel_hi:[1,0]
	v_pk_add_f32 v[98:99], v[82:83], v[92:93] op_sel:[0,1] op_sel_hi:[1,0]
	v_pk_add_f32 v[82:83], v[82:83], v[92:93] op_sel:[0,1] op_sel_hi:[1,0] neg_lo:[0,1] neg_hi:[0,1]
	v_pk_add_f32 v[92:93], v[98:99], v[94:95] op_sel:[0,1] op_sel_hi:[1,0] neg_lo:[0,1] neg_hi:[0,1]
	v_pk_add_f32 v[82:83], v[82:83], v[94:95] op_sel:[0,1] op_sel_hi:[1,0]
	v_mov_b32_e32 v94, v92
	v_mov_b32_e32 v95, v83
	v_pk_fma_f32 v[98:99], v[86:87], s[0:1], v[94:95] op_sel_hi:[1,0,1]
	v_mov_b32_e32 v83, v93
	ds_read2_b64 v[92:95], v220 offset0:104 offset1:117
	v_mov_b32_e32 v105, v109
	v_pk_fma_f32 v[82:83], v[86:87], s[0:1], v[82:83] op_sel_hi:[1,0,1]
	v_pk_fma_f32 v[86:87], v[110:111], s[0:1], v[104:105] op_sel_hi:[1,0,1]
	v_accvgpr_read_b32 v105, a37
	s_waitcnt lgkmcnt(0)
	v_pk_mul_f32 v[28:29], v[28:29], v[94:95]
	v_accvgpr_read_b32 v104, a36
	v_pk_fma_f32 v[102:103], v[104:105], v[94:95], v[28:29] op_sel:[0,0,1] op_sel_hi:[1,1,0]
	v_pk_fma_f32 v[28:29], v[104:105], v[94:95], v[28:29] op_sel:[0,0,1] op_sel_hi:[1,1,0] neg_lo:[0,0,1] neg_hi:[0,0,1]
	ds_read2_b64 v[120:123], v220 offset0:234 offset1:247
	ds_read_b64 v[100:101], v220 offset:2496
	v_mov_b32_e32 v103, v29
	v_pk_mul_f32 v[28:29], v[30:31], v[90:91]
	v_accvgpr_read_b32 v30, a34
	v_accvgpr_read_b32 v31, a35
	v_pk_fma_f32 v[94:95], v[30:31], v[90:91], v[28:29] op_sel:[0,0,1] op_sel_hi:[1,1,0]
	v_pk_fma_f32 v[28:29], v[30:31], v[90:91], v[28:29] op_sel:[0,0,1] op_sel_hi:[1,1,0] neg_lo:[0,0,1] neg_hi:[0,0,1]
	s_waitcnt lgkmcnt(1)
	v_pk_mul_f32 v[20:21], v[20:21], v[122:123]
	v_mov_b32_e32 v95, v29
	v_accvgpr_read_b32 v28, a32
	v_accvgpr_read_b32 v29, a33
	v_pk_fma_f32 v[90:91], v[28:29], v[122:123], v[20:21] op_sel:[0,0,1] op_sel_hi:[1,1,0]
	v_pk_fma_f32 v[20:21], v[28:29], v[122:123], v[20:21] op_sel:[0,0,1] op_sel_hi:[1,1,0] neg_lo:[0,0,1] neg_hi:[0,0,1]
	v_pk_mul_f32 v[24:25], v[24:25], v[92:93]
	v_mov_b32_e32 v91, v21
	s_waitcnt lgkmcnt(0)
	v_pk_mul_f32 v[20:21], v[22:23], v[100:101]
	v_accvgpr_read_b32 v22, a30
	v_accvgpr_read_b32 v23, a31
	v_pk_fma_f32 v[104:105], v[22:23], v[100:101], v[20:21] op_sel:[0,0,1] op_sel_hi:[1,1,0]
	v_pk_fma_f32 v[20:21], v[22:23], v[100:101], v[20:21] op_sel:[0,0,1] op_sel_hi:[1,1,0] neg_lo:[0,0,1] neg_hi:[0,0,1]
	v_pk_fma_f32 v[106:107], v[188:189], v[92:93], v[24:25] op_sel:[0,0,1] op_sel_hi:[1,1,0]
	v_mov_b32_e32 v105, v21
	v_pk_add_f32 v[20:21], v[72:73], v[102:103]
	v_pk_fma_f32 v[24:25], v[188:189], v[92:93], v[24:25] op_sel:[0,0,1] op_sel_hi:[1,1,0] neg_lo:[0,0,1] neg_hi:[0,0,1]
	v_pk_add_f32 v[20:21], v[20:21], v[94:95]
	v_mov_b32_e32 v107, v25
	v_pk_add_f32 v[20:21], v[20:21], v[90:91]
	v_pk_mul_f32 v[16:17], v[16:17], v[120:121]
	v_pk_add_f32 v[100:101], v[20:21], v[104:105]
	ds_read2_b64 v[20:23], v220 offset0:26 offset1:39
	ds_read2_b64 v[28:31], v220 offset0:156 offset1:169
	ds_read2_b64 v[122:125], v80 offset0:30 offset1:43
	v_mov_b32_e32 v77, s3
	s_waitcnt lgkmcnt(1)
	v_pk_mul_f32 v[24:25], v[26:27], v[30:31]
	s_nop 0
	v_pk_fma_f32 v[92:93], v[196:197], v[30:31], v[24:25] op_sel:[0,0,1] op_sel_hi:[1,1,0]
	v_pk_fma_f32 v[24:25], v[196:197], v[30:31], v[24:25] op_sel:[0,0,1] op_sel_hi:[1,1,0] neg_lo:[0,0,1] neg_hi:[0,0,1]
	v_pk_fma_f32 v[30:31], v[200:201], v[120:121], v[16:17] op_sel:[0,0,1] op_sel_hi:[1,1,0]
	v_pk_fma_f32 v[16:17], v[200:201], v[120:121], v[16:17] op_sel:[0,0,1] op_sel_hi:[1,1,0] neg_lo:[0,0,1] neg_hi:[0,0,1]
	v_mov_b32_e32 v93, v25
	v_mov_b32_e32 v31, v17
	s_waitcnt lgkmcnt(0)
	v_pk_mul_f32 v[16:17], v[18:19], v[124:125]
	v_pk_add_f32 v[18:19], v[106:107], v[92:93] neg_lo:[0,1] neg_hi:[0,1]
	v_pk_fma_f32 v[108:109], v[202:203], v[124:125], v[16:17] op_sel:[0,0,1] op_sel_hi:[1,1,0]
	v_pk_fma_f32 v[16:17], v[202:203], v[124:125], v[16:17] op_sel:[0,0,1] op_sel_hi:[1,1,0] neg_lo:[0,0,1] neg_hi:[0,0,1]
	v_pk_add_f32 v[120:121], v[92:93], v[30:31] neg_lo:[0,1] neg_hi:[0,1]
	v_mov_b32_e32 v109, v17
	v_pk_add_f32 v[16:17], v[92:93], v[30:31]
	v_pk_add_f32 v[110:111], v[106:107], v[108:109] neg_lo:[0,1] neg_hi:[0,1]
	v_pk_fma_f32 v[16:17], v[16:17], 0.5, v[22:23] op_sel_hi:[1,0,1] neg_lo:[1,0,0] neg_hi:[1,0,0]
	v_pk_add_f32 v[24:25], v[108:109], v[30:31] neg_lo:[0,1] neg_hi:[0,1]
	s_nop 0
	v_pk_add_f32 v[124:125], v[18:19], v[24:25]
	v_pk_fma_f32 v[18:19], v[110:111], s[2:3], v[16:17] op_sel:[1,0,0] op_sel_hi:[0,0,1]
	v_pk_fma_f32 v[16:17], v[110:111], s[2:3], v[16:17] op_sel:[1,0,0] op_sel_hi:[0,0,1] neg_lo:[1,0,0] neg_hi:[1,0,0]
	v_pk_fma_f32 v[126:127], v[120:121], s[6:7], v[16:17] op_sel:[1,0,0] op_sel_hi:[0,0,1] neg_lo:[1,0,0] neg_hi:[1,0,0]
	v_pk_fma_f32 v[128:129], v[120:121], s[6:7], v[18:19] op_sel:[1,0,0] op_sel_hi:[0,0,1]
	ds_read2_b64 v[16:19], v220 offset0:78 offset1:91
	v_mov_b32_e32 v24, v128
	v_mov_b32_e32 v25, v127
	v_pk_fma_f32 v[130:131], v[124:125], s[0:1], v[24:25] op_sel_hi:[1,0,1]
	ds_read2_b64 v[24:27], v220 offset0:208 offset1:221
	s_waitcnt lgkmcnt(1)
	v_pk_mul_f32 v[4:5], v[4:5], v[16:17]
	s_waitcnt lgkmcnt(0)
	v_pk_fma_f32 v[136:137], v[160:161], v[16:17], v[4:5] op_sel:[0,0,1] op_sel_hi:[1,1,0]
	v_pk_fma_f32 v[4:5], v[160:161], v[16:17], v[4:5] op_sel:[0,0,1] op_sel_hi:[1,1,0] neg_lo:[0,0,1] neg_hi:[0,0,1]
	v_pk_mul_f32 v[0:1], v[0:1], v[24:25]
	v_mov_b32_e32 v137, v5
	v_pk_mul_f32 v[4:5], v[6:7], v[88:89]
	; wave barrier
	s_nop 0
	v_pk_fma_f32 v[6:7], v[158:159], v[88:89], v[4:5] op_sel:[0,0,1] op_sel_hi:[1,1,0]
	v_pk_fma_f32 v[4:5], v[158:159], v[88:89], v[4:5] op_sel:[0,0,1] op_sel_hi:[1,1,0] neg_lo:[0,0,1] neg_hi:[0,0,1]
	ds_write2_b64 v220, v[74:75], v[112:113] offset1:13
	ds_write2_b64 v220, v[98:99], v[82:83] offset0:26 offset1:39
	v_mov_b32_e32 v7, v5
	v_pk_fma_f32 v[4:5], v[156:157], v[24:25], v[0:1] op_sel:[0,0,1] op_sel_hi:[1,1,0]
	v_pk_fma_f32 v[0:1], v[156:157], v[24:25], v[0:1] op_sel:[0,0,1] op_sel_hi:[1,1,0] neg_lo:[0,0,1] neg_hi:[0,0,1]
	v_pk_add_f32 v[74:75], v[84:85], v[136:137]
	v_mov_b32_e32 v5, v1
	v_pk_mul_f32 v[0:1], v[2:3], v[96:97]
	v_pk_mul_f32 v[12:13], v[12:13], v[18:19]
	v_pk_fma_f32 v[2:3], v[154:155], v[96:97], v[0:1] op_sel:[0,0,1] op_sel_hi:[1,1,0]
	v_pk_fma_f32 v[0:1], v[154:155], v[96:97], v[0:1] op_sel:[0,0,1] op_sel_hi:[1,1,0] neg_lo:[0,0,1] neg_hi:[0,0,1]
	v_pk_add_f32 v[74:75], v[74:75], v[6:7]
	v_pk_fma_f32 v[132:133], v[190:191], v[18:19], v[12:13] op_sel:[0,0,1] op_sel_hi:[1,1,0]
	v_pk_fma_f32 v[12:13], v[190:191], v[18:19], v[12:13] op_sel:[0,0,1] op_sel_hi:[1,1,0] neg_lo:[0,0,1] neg_hi:[0,0,1]
	v_mov_b32_e32 v3, v1
	v_pk_add_f32 v[74:75], v[74:75], v[4:5]
	v_mov_b32_e32 v133, v13
	v_pk_mul_f32 v[12:13], v[14:15], v[28:29]
	v_pk_add_f32 v[74:75], v[74:75], v[2:3]
	v_pk_fma_f32 v[14:15], v[192:193], v[28:29], v[12:13] op_sel:[0,0,1] op_sel_hi:[1,1,0]
	v_pk_fma_f32 v[12:13], v[192:193], v[28:29], v[12:13] op_sel:[0,0,1] op_sel_hi:[1,1,0] neg_lo:[0,0,1] neg_hi:[0,0,1]
	v_pk_mul_f32 v[8:9], v[8:9], v[26:27]
	v_pk_add_f32 v[0:1], v[6:7], v[4:5]
	ds_write2_b64 v220, v[86:87], v[74:75] offset0:52 offset1:65
	v_pk_add_f32 v[74:75], v[136:137], v[2:3]
	v_mov_b32_e32 v15, v13
	v_pk_fma_f32 v[12:13], v[194:195], v[26:27], v[8:9] op_sel:[0,0,1] op_sel_hi:[1,1,0]
	v_pk_fma_f32 v[8:9], v[194:195], v[26:27], v[8:9] op_sel:[0,0,1] op_sel_hi:[1,1,0] neg_lo:[0,0,1] neg_hi:[0,0,1]
	v_pk_fma_f32 v[0:1], v[0:1], 0.5, v[84:85] op_sel_hi:[1,0,1] neg_lo:[1,0,0] neg_hi:[1,0,0]
	v_pk_add_f32 v[16:17], v[136:137], v[2:3] neg_lo:[0,1] neg_hi:[0,1]
	v_pk_add_f32 v[24:25], v[6:7], v[4:5] neg_lo:[0,1] neg_hi:[0,1]
	;; [unrolled: 1-line block ×4, first 2 shown]
	v_pk_fma_f32 v[74:75], v[74:75], 0.5, v[84:85] op_sel_hi:[1,0,1] neg_lo:[1,0,0] neg_hi:[1,0,0]
	v_pk_add_f32 v[6:7], v[6:7], v[136:137] neg_lo:[0,1] neg_hi:[0,1]
	v_pk_add_f32 v[2:3], v[4:5], v[2:3] neg_lo:[0,1] neg_hi:[0,1]
	v_mov_b32_e32 v13, v9
	v_pk_mul_f32 v[8:9], v[10:11], v[122:123]
	v_pk_add_f32 v[88:89], v[88:89], v[96:97]
	v_pk_fma_f32 v[96:97], v[16:17], s[2:3], v[0:1] op_sel:[1,0,0] op_sel_hi:[0,0,1]
	v_pk_fma_f32 v[0:1], v[16:17], s[2:3], v[0:1] op_sel:[1,0,0] op_sel_hi:[0,0,1] neg_lo:[1,0,0] neg_hi:[1,0,0]
	v_pk_add_f32 v[2:3], v[6:7], v[2:3]
	v_pk_fma_f32 v[4:5], v[24:25], s[2:3], v[74:75] op_sel:[1,0,0] op_sel_hi:[0,0,1] neg_lo:[1,0,0] neg_hi:[1,0,0]
	v_pk_fma_f32 v[6:7], v[24:25], s[2:3], v[74:75] op_sel:[1,0,0] op_sel_hi:[0,0,1]
	v_pk_fma_f32 v[10:11], v[198:199], v[122:123], v[8:9] op_sel:[0,0,1] op_sel_hi:[1,1,0]
	v_pk_fma_f32 v[8:9], v[198:199], v[122:123], v[8:9] op_sel:[0,0,1] op_sel_hi:[1,1,0] neg_lo:[0,0,1] neg_hi:[0,0,1]
	v_pk_fma_f32 v[0:1], v[24:25], s[6:7], v[0:1] op_sel:[1,0,0] op_sel_hi:[0,0,1] neg_lo:[1,0,0] neg_hi:[1,0,0]
	v_pk_fma_f32 v[96:97], v[24:25], s[6:7], v[96:97] op_sel:[1,0,0] op_sel_hi:[0,0,1]
	v_pk_fma_f32 v[6:7], v[16:17], s[6:7], v[6:7] op_sel:[1,0,0] op_sel_hi:[0,0,1] neg_lo:[1,0,0] neg_hi:[1,0,0]
	v_pk_fma_f32 v[4:5], v[16:17], s[6:7], v[4:5] op_sel:[1,0,0] op_sel_hi:[0,0,1]
	v_mov_b32_e32 v11, v9
	v_pk_add_f32 v[8:9], v[14:15], v[12:13]
	v_mov_b32_e32 v139, v1
	v_mov_b32_e32 v1, v97
	;; [unrolled: 1-line block ×5, first 2 shown]
	v_pk_fma_f32 v[8:9], v[8:9], 0.5, v[20:21] op_sel_hi:[1,0,1] neg_lo:[1,0,0] neg_hi:[1,0,0]
	v_pk_add_f32 v[18:19], v[132:133], v[10:11] neg_lo:[0,1] neg_hi:[0,1]
	v_pk_add_f32 v[28:29], v[132:133], v[14:15] neg_lo:[0,1] neg_hi:[0,1]
	;; [unrolled: 1-line block ×3, first 2 shown]
	v_mov_b32_e32 v138, v96
	v_pk_fma_f32 v[0:1], v[88:89], s[0:1], v[0:1] op_sel_hi:[1,0,1]
	v_pk_fma_f32 v[16:17], v[2:3], s[0:1], v[16:17] op_sel_hi:[1,0,1]
	;; [unrolled: 1-line block ×3, first 2 shown]
	v_pk_add_f32 v[26:27], v[14:15], v[12:13] neg_lo:[0,1] neg_hi:[0,1]
	v_pk_add_f32 v[28:29], v[28:29], v[122:123]
	v_pk_fma_f32 v[122:123], v[18:19], s[2:3], v[8:9] op_sel:[1,0,0] op_sel_hi:[0,0,1]
	v_pk_fma_f32 v[8:9], v[18:19], s[2:3], v[8:9] op_sel:[1,0,0] op_sel_hi:[0,0,1] neg_lo:[1,0,0] neg_hi:[1,0,0]
	v_pk_fma_f32 v[138:139], v[88:89], s[0:1], v[138:139] op_sel_hi:[1,0,1]
	ds_write2_b64 v220, v[0:1], v[2:3] offset0:78 offset1:91
	ds_write2_b64 v220, v[16:17], v[138:139] offset0:104 offset1:117
	v_pk_add_f32 v[0:1], v[20:21], v[132:133]
	v_pk_fma_f32 v[8:9], v[26:27], s[6:7], v[8:9] op_sel:[1,0,0] op_sel_hi:[0,0,1] neg_lo:[1,0,0] neg_hi:[1,0,0]
	v_pk_fma_f32 v[122:123], v[26:27], s[6:7], v[122:123] op_sel:[1,0,0] op_sel_hi:[0,0,1]
	v_pk_add_f32 v[0:1], v[0:1], v[14:15]
	v_mov_b32_e32 v135, v9
	v_pk_add_f32 v[0:1], v[0:1], v[12:13]
	v_mov_b32_e32 v9, v123
	v_pk_add_f32 v[0:1], v[0:1], v[10:11]
	v_pk_fma_f32 v[2:3], v[28:29], s[0:1], v[8:9] op_sel_hi:[1,0,1]
	ds_write2_b64 v249, v[0:1], v[2:3] offset0:130 offset1:143
	v_pk_add_f32 v[0:1], v[132:133], v[10:11]
	v_pk_add_f32 v[2:3], v[14:15], v[132:133] neg_lo:[0,1] neg_hi:[0,1]
	v_pk_fma_f32 v[0:1], v[0:1], 0.5, v[20:21] op_sel_hi:[1,0,1] neg_lo:[1,0,0] neg_hi:[1,0,0]
	v_pk_add_f32 v[4:5], v[12:13], v[10:11] neg_lo:[0,1] neg_hi:[0,1]
	v_mov_b32_e32 v134, v122
	v_pk_add_f32 v[2:3], v[2:3], v[4:5]
	v_pk_fma_f32 v[4:5], v[26:27], s[2:3], v[0:1] op_sel:[1,0,0] op_sel_hi:[0,0,1] neg_lo:[1,0,0] neg_hi:[1,0,0]
	v_pk_fma_f32 v[0:1], v[26:27], s[2:3], v[0:1] op_sel:[1,0,0] op_sel_hi:[0,0,1]
	v_pk_fma_f32 v[0:1], v[18:19], s[6:7], v[0:1] op_sel:[1,0,0] op_sel_hi:[0,0,1] neg_lo:[1,0,0] neg_hi:[1,0,0]
	v_pk_fma_f32 v[4:5], v[18:19], s[6:7], v[4:5] op_sel:[1,0,0] op_sel_hi:[0,0,1]
	v_mov_b32_e32 v6, v4
	v_mov_b32_e32 v7, v1
	;; [unrolled: 1-line block ×3, first 2 shown]
	v_pk_fma_f32 v[6:7], v[2:3], s[0:1], v[6:7] op_sel_hi:[1,0,1]
	v_pk_fma_f32 v[0:1], v[2:3], s[0:1], v[0:1] op_sel_hi:[1,0,1]
	;; [unrolled: 1-line block ×3, first 2 shown]
	ds_write2_b64 v249, v[0:1], v[6:7] offset0:156 offset1:169
	ds_write_b64 v249, v[134:135] offset:1456
	v_pk_add_f32 v[0:1], v[22:23], v[106:107]
	v_mov_b32_e32 v127, v129
	v_pk_add_f32 v[0:1], v[0:1], v[92:93]
	v_pk_fma_f32 v[2:3], v[124:125], s[0:1], v[126:127] op_sel_hi:[1,0,1]
	v_pk_add_f32 v[0:1], v[0:1], v[30:31]
	v_pk_add_f32 v[4:5], v[30:31], v[108:109] neg_lo:[0,1] neg_hi:[0,1]
	v_pk_add_f32 v[0:1], v[0:1], v[108:109]
	ds_write2_b64 v169, v[0:1], v[2:3] offset0:195 offset1:208
	v_pk_add_f32 v[0:1], v[106:107], v[108:109]
	v_pk_add_f32 v[2:3], v[92:93], v[106:107] neg_lo:[0,1] neg_hi:[0,1]
	v_pk_fma_f32 v[0:1], v[0:1], 0.5, v[22:23] op_sel_hi:[1,0,1] neg_lo:[1,0,0] neg_hi:[1,0,0]
	v_pk_add_f32 v[2:3], v[2:3], v[4:5]
	v_pk_fma_f32 v[4:5], v[120:121], s[2:3], v[0:1] op_sel:[1,0,0] op_sel_hi:[0,0,1] neg_lo:[1,0,0] neg_hi:[1,0,0]
	v_pk_fma_f32 v[0:1], v[120:121], s[2:3], v[0:1] op_sel:[1,0,0] op_sel_hi:[0,0,1]
	v_pk_fma_f32 v[0:1], v[110:111], s[6:7], v[0:1] op_sel:[1,0,0] op_sel_hi:[0,0,1] neg_lo:[1,0,0] neg_hi:[1,0,0]
	v_pk_fma_f32 v[4:5], v[110:111], s[6:7], v[4:5] op_sel:[1,0,0] op_sel_hi:[0,0,1]
	v_mov_b32_e32 v6, v4
	v_mov_b32_e32 v7, v1
	;; [unrolled: 1-line block ×3, first 2 shown]
	v_pk_fma_f32 v[6:7], v[2:3], s[0:1], v[6:7] op_sel_hi:[1,0,1]
	v_pk_fma_f32 v[0:1], v[2:3], s[0:1], v[0:1] op_sel_hi:[1,0,1]
	ds_write2_b64 v169, v[0:1], v[6:7] offset0:221 offset1:234
	ds_write_b64 v169, v[130:131] offset:1976
	v_pk_add_f32 v[0:1], v[94:95], v[90:91]
	v_pk_add_f32 v[2:3], v[102:103], v[104:105] neg_lo:[0,1] neg_hi:[0,1]
	v_pk_fma_f32 v[0:1], v[0:1], 0.5, v[72:73] op_sel_hi:[1,0,1] neg_lo:[1,0,0] neg_hi:[1,0,0]
	v_pk_mul_f32 v[4:5], v[2:3], s[2:3] op_sel_hi:[1,0]
	v_pk_add_f32 v[6:7], v[94:95], v[90:91] neg_lo:[0,1] neg_hi:[0,1]
	v_pk_add_f32 v[10:11], v[102:103], v[94:95] neg_lo:[0,1] neg_hi:[0,1]
	;; [unrolled: 1-line block ×3, first 2 shown]
	v_pk_mul_f32 v[8:9], v[6:7], s[6:7] op_sel_hi:[1,0]
	v_pk_add_f32 v[10:11], v[10:11], v[12:13]
	v_pk_add_f32 v[12:13], v[0:1], v[4:5] op_sel:[0,1] op_sel_hi:[1,0] neg_lo:[0,1] neg_hi:[0,1]
	v_pk_add_f32 v[0:1], v[0:1], v[4:5] op_sel:[0,1] op_sel_hi:[1,0]
	v_pk_add_f32 v[4:5], v[12:13], v[8:9] op_sel:[0,1] op_sel_hi:[1,0] neg_lo:[0,1] neg_hi:[0,1]
	v_pk_add_f32 v[0:1], v[0:1], v[8:9] op_sel:[0,1] op_sel_hi:[1,0]
	v_mov_b32_e32 v8, v4
	v_mov_b32_e32 v9, v1
	v_pk_fma_f32 v[8:9], v[10:11], s[0:1], v[8:9] op_sel_hi:[1,0,1]
	v_add_u32_e32 v1, 0x800, v168
	ds_write2_b64 v1, v[100:101], v[8:9] offset0:4 offset1:17
	v_pk_add_f32 v[8:9], v[102:103], v[104:105]
	v_pk_add_f32 v[12:13], v[94:95], v[102:103] neg_lo:[0,1] neg_hi:[0,1]
	v_pk_fma_f32 v[8:9], v[8:9], 0.5, v[72:73] op_sel_hi:[1,0,1] neg_lo:[1,0,0] neg_hi:[1,0,0]
	v_pk_add_f32 v[14:15], v[90:91], v[104:105] neg_lo:[0,1] neg_hi:[0,1]
	v_pk_mul_f32 v[6:7], v[6:7], s[2:3] op_sel_hi:[1,0]
	v_pk_add_f32 v[12:13], v[12:13], v[14:15]
	v_pk_mul_f32 v[2:3], v[2:3], s[6:7] op_sel_hi:[1,0]
	v_pk_add_f32 v[14:15], v[8:9], v[6:7] op_sel:[0,1] op_sel_hi:[1,0]
	v_pk_add_f32 v[6:7], v[8:9], v[6:7] op_sel:[0,1] op_sel_hi:[1,0] neg_lo:[0,1] neg_hi:[0,1]
	v_accvgpr_read_b32 v73, a47
	v_pk_add_f32 v[6:7], v[6:7], v[2:3] op_sel:[0,1] op_sel_hi:[1,0]
	v_pk_add_f32 v[2:3], v[14:15], v[2:3] op_sel:[0,1] op_sel_hi:[1,0] neg_lo:[0,1] neg_hi:[0,1]
	v_mov_b32_e32 v9, v7
	v_mov_b32_e32 v8, v2
	;; [unrolled: 1-line block ×3, first 2 shown]
	v_pk_fma_f32 v[8:9], v[12:13], s[0:1], v[8:9] op_sel_hi:[1,0,1]
	v_pk_fma_f32 v[2:3], v[12:13], s[0:1], v[6:7] op_sel_hi:[1,0,1]
	ds_write2_b64 v1, v[8:9], v[2:3] offset0:30 offset1:43
	v_mov_b32_e32 v1, v5
	v_pk_fma_f32 v[0:1], v[10:11], s[0:1], v[0:1] op_sel_hi:[1,0,1]
	ds_write_b64 v168, v[0:1] offset:2496
	s_waitcnt lgkmcnt(0)
	; wave barrier
	s_waitcnt lgkmcnt(0)
	ds_read2_b64 v[0:3], v220 offset0:52 offset1:65
	ds_read2_b64 v[4:7], v220 offset1:13
	ds_read2_b64 v[8:11], v220 offset0:130 offset1:143
	ds_read2_b64 v[12:15], v220 offset0:182 offset1:195
	;; [unrolled: 1-line block ×3, first 2 shown]
	s_waitcnt lgkmcnt(4)
	v_pk_mul_f32 v[20:21], v[68:69], v[2:3]
	v_accvgpr_read_b32 v72, a46
	v_pk_fma_f32 v[28:29], v[182:183], v[2:3], v[20:21] op_sel:[0,0,1] op_sel_hi:[1,1,0]
	v_pk_fma_f32 v[2:3], v[182:183], v[2:3], v[20:21] op_sel:[0,0,1] op_sel_hi:[1,1,0] neg_lo:[0,0,1] neg_hi:[0,0,1]
	ds_read2_b64 v[20:23], v220 offset0:208 offset1:221
	v_mov_b32_e32 v29, v3
	s_waitcnt lgkmcnt(3)
	v_pk_mul_f32 v[2:3], v[70:71], v[8:9]
	s_nop 0
	v_pk_fma_f32 v[30:31], v[180:181], v[8:9], v[2:3] op_sel:[0,0,1] op_sel_hi:[1,1,0]
	v_pk_fma_f32 v[2:3], v[180:181], v[8:9], v[2:3] op_sel:[0,0,1] op_sel_hi:[1,1,0] neg_lo:[0,0,1] neg_hi:[0,0,1]
	s_nop 0
	v_mov_b32_e32 v31, v3
	s_waitcnt lgkmcnt(2)
	v_pk_mul_f32 v[2:3], v[64:65], v[14:15]
	s_nop 0
	v_pk_fma_f32 v[64:65], v[184:185], v[14:15], v[2:3] op_sel:[0,0,1] op_sel_hi:[1,1,0]
	v_pk_fma_f32 v[2:3], v[184:185], v[14:15], v[2:3] op_sel:[0,0,1] op_sel_hi:[1,1,0] neg_lo:[0,0,1] neg_hi:[0,0,1]
	s_nop 0
	v_mov_b32_e32 v65, v3
	s_waitcnt lgkmcnt(1)
	v_pk_mul_f32 v[2:3], v[66:67], v[16:17]
	s_nop 0
	v_pk_fma_f32 v[66:67], v[186:187], v[16:17], v[2:3] op_sel:[0,0,1] op_sel_hi:[1,1,0]
	v_pk_fma_f32 v[2:3], v[186:187], v[16:17], v[2:3] op_sel:[0,0,1] op_sel_hi:[1,1,0] neg_lo:[0,0,1] neg_hi:[0,0,1]
	ds_read2_b64 v[14:17], v220 offset0:78 offset1:91
	v_mov_b32_e32 v67, v3
	v_pk_add_f32 v[2:3], v[4:5], v[28:29]
	s_waitcnt lgkmcnt(0)
	v_pk_mul_f32 v[8:9], v[60:61], v[14:15]
	s_nop 0
	v_pk_fma_f32 v[60:61], v[114:115], v[14:15], v[8:9] op_sel:[0,0,1] op_sel_hi:[1,1,0]
	v_pk_fma_f32 v[8:9], v[114:115], v[14:15], v[8:9] op_sel:[0,0,1] op_sel_hi:[1,1,0] neg_lo:[0,0,1] neg_hi:[0,0,1]
	v_pk_mul_f32 v[14:15], v[52:53], v[16:17]
	v_mov_b32_e32 v61, v9
	v_pk_mul_f32 v[8:9], v[62:63], v[10:11]
	v_pk_fma_f32 v[52:53], v[118:119], v[16:17], v[14:15] op_sel:[0,0,1] op_sel_hi:[1,1,0]
	v_pk_fma_f32 v[62:63], v[116:117], v[10:11], v[8:9] op_sel:[0,0,1] op_sel_hi:[1,1,0]
	v_pk_fma_f32 v[8:9], v[116:117], v[10:11], v[8:9] op_sel:[0,0,1] op_sel_hi:[1,1,0] neg_lo:[0,0,1] neg_hi:[0,0,1]
	v_pk_fma_f32 v[14:15], v[118:119], v[16:17], v[14:15] op_sel:[0,0,1] op_sel_hi:[1,1,0] neg_lo:[0,0,1] neg_hi:[0,0,1]
	v_mov_b32_e32 v63, v9
	v_pk_mul_f32 v[8:9], v[56:57], v[20:21]
	v_mov_b32_e32 v53, v15
	v_pk_fma_f32 v[56:57], v[172:173], v[20:21], v[8:9] op_sel:[0,0,1] op_sel_hi:[1,1,0]
	v_pk_fma_f32 v[8:9], v[172:173], v[20:21], v[8:9] op_sel:[0,0,1] op_sel_hi:[1,1,0] neg_lo:[0,0,1] neg_hi:[0,0,1]
	v_pk_add_f32 v[2:3], v[2:3], v[30:31]
	v_mov_b32_e32 v57, v9
	v_pk_mul_f32 v[8:9], v[58:59], v[18:19]
	v_pk_add_f32 v[2:3], v[2:3], v[64:65]
	v_pk_fma_f32 v[58:59], v[174:175], v[18:19], v[8:9] op_sel:[0,0,1] op_sel_hi:[1,1,0]
	v_pk_fma_f32 v[8:9], v[174:175], v[18:19], v[8:9] op_sel:[0,0,1] op_sel_hi:[1,1,0] neg_lo:[0,0,1] neg_hi:[0,0,1]
	v_pk_add_f32 v[2:3], v[2:3], v[66:67]
	v_mov_b32_e32 v59, v9
	v_pk_add_f32 v[8:9], v[6:7], v[60:61]
	s_nop 0
	v_pk_add_f32 v[8:9], v[8:9], v[62:63]
	s_nop 0
	v_pk_add_f32 v[8:9], v[8:9], v[56:57]
	s_nop 0
	v_pk_add_f32 v[68:69], v[8:9], v[58:59]
	ds_read2_b64 v[8:11], v220 offset0:26 offset1:39
	ds_read2_b64 v[18:21], v220 offset0:156 offset1:169
	;; [unrolled: 1-line block ×3, first 2 shown]
	ds_write_b64 v220, v[2:3]
	v_pk_add_f32 v[2:3], v[30:31], v[64:65]
	s_waitcnt lgkmcnt(2)
	v_pk_mul_f32 v[14:15], v[54:55], v[18:19]
	s_nop 0
	v_pk_fma_f32 v[54:55], v[170:171], v[18:19], v[14:15] op_sel:[0,0,1] op_sel_hi:[1,1,0]
	v_pk_fma_f32 v[14:15], v[170:171], v[18:19], v[14:15] op_sel:[0,0,1] op_sel_hi:[1,1,0] neg_lo:[0,0,1] neg_hi:[0,0,1]
	v_pk_fma_f32 v[2:3], v[2:3], 0.5, v[4:5] op_sel_hi:[1,0,1] neg_lo:[1,0,0] neg_hi:[1,0,0]
	v_mov_b32_e32 v55, v15
	v_pk_mul_f32 v[14:15], v[48:49], v[22:23]
	s_nop 0
	v_pk_fma_f32 v[18:19], v[176:177], v[22:23], v[14:15] op_sel:[0,0,1] op_sel_hi:[1,1,0]
	v_pk_fma_f32 v[14:15], v[176:177], v[22:23], v[14:15] op_sel:[0,0,1] op_sel_hi:[1,1,0] neg_lo:[0,0,1] neg_hi:[0,0,1]
	v_pk_add_f32 v[22:23], v[8:9], v[52:53]
	v_mov_b32_e32 v19, v15
	s_waitcnt lgkmcnt(1)
	v_pk_mul_f32 v[14:15], v[50:51], v[24:25]
	v_pk_add_f32 v[22:23], v[22:23], v[54:55]
	v_pk_fma_f32 v[48:49], v[178:179], v[24:25], v[14:15] op_sel:[0,0,1] op_sel_hi:[1,1,0]
	v_pk_fma_f32 v[14:15], v[178:179], v[24:25], v[14:15] op_sel:[0,0,1] op_sel_hi:[1,1,0] neg_lo:[0,0,1] neg_hi:[0,0,1]
	v_pk_add_f32 v[22:23], v[22:23], v[18:19]
	v_mov_b32_e32 v49, v15
	ds_read2_b64 v[14:17], v220 offset0:104 offset1:117
	v_pk_add_f32 v[50:51], v[22:23], v[48:49]
	ds_read2_b64 v[22:25], v220 offset0:234 offset1:247
	s_waitcnt lgkmcnt(1)
	v_pk_mul_f32 v[44:45], v[44:45], v[14:15]
	s_nop 0
	v_pk_fma_f32 v[70:71], v[72:73], v[14:15], v[44:45] op_sel:[0,0,1] op_sel_hi:[1,1,0]
	v_pk_fma_f32 v[14:15], v[72:73], v[14:15], v[44:45] op_sel:[0,0,1] op_sel_hi:[1,1,0] neg_lo:[0,0,1] neg_hi:[0,0,1]
	v_pk_mul_f32 v[36:37], v[36:37], v[16:17]
	v_mov_b32_e32 v71, v15
	v_pk_mul_f32 v[14:15], v[46:47], v[20:21]
	v_accvgpr_read_b32 v46, a50
	v_accvgpr_read_b32 v47, a51
	v_pk_fma_f32 v[44:45], v[46:47], v[20:21], v[14:15] op_sel:[0,0,1] op_sel_hi:[1,1,0]
	v_pk_fma_f32 v[14:15], v[46:47], v[20:21], v[14:15] op_sel:[0,0,1] op_sel_hi:[1,1,0] neg_lo:[0,0,1] neg_hi:[0,0,1]
	v_pk_add_f32 v[46:47], v[66:67], v[64:65] neg_lo:[0,1] neg_hi:[0,1]
	v_mov_b32_e32 v45, v15
	s_waitcnt lgkmcnt(0)
	v_pk_mul_f32 v[14:15], v[40:41], v[22:23]
	v_accvgpr_read_b32 v40, a48
	v_accvgpr_read_b32 v41, a49
	v_pk_fma_f32 v[20:21], v[40:41], v[22:23], v[14:15] op_sel:[0,0,1] op_sel_hi:[1,1,0]
	v_pk_fma_f32 v[14:15], v[40:41], v[22:23], v[14:15] op_sel:[0,0,1] op_sel_hi:[1,1,0] neg_lo:[0,0,1] neg_hi:[0,0,1]
	v_accvgpr_read_b32 v40, a52
	v_mov_b32_e32 v21, v15
	v_pk_mul_f32 v[14:15], v[42:43], v[26:27]
	v_accvgpr_read_b32 v43, a39
	v_accvgpr_read_b32 v41, a53
	;; [unrolled: 1-line block ×3, first 2 shown]
	v_pk_fma_f32 v[22:23], v[40:41], v[26:27], v[14:15] op_sel:[0,0,1] op_sel_hi:[1,1,0]
	v_pk_fma_f32 v[14:15], v[40:41], v[26:27], v[14:15] op_sel:[0,0,1] op_sel_hi:[1,1,0] neg_lo:[0,0,1] neg_hi:[0,0,1]
	v_pk_fma_f32 v[40:41], v[42:43], v[16:17], v[36:37] op_sel:[0,0,1] op_sel_hi:[1,1,0]
	v_pk_fma_f32 v[16:17], v[42:43], v[16:17], v[36:37] op_sel:[0,0,1] op_sel_hi:[1,1,0] neg_lo:[0,0,1] neg_hi:[0,0,1]
	ds_read_b64 v[26:27], v220 offset:2496
	v_mov_b32_e32 v41, v17
	v_pk_mul_f32 v[16:17], v[38:39], v[12:13]
	v_accvgpr_read_b32 v38, a40
	v_accvgpr_read_b32 v39, a41
	v_pk_fma_f32 v[36:37], v[38:39], v[12:13], v[16:17] op_sel:[0,0,1] op_sel_hi:[1,1,0]
	v_pk_fma_f32 v[12:13], v[38:39], v[12:13], v[16:17] op_sel:[0,0,1] op_sel_hi:[1,1,0] neg_lo:[0,0,1] neg_hi:[0,0,1]
	v_pk_add_f32 v[42:43], v[28:29], v[30:31] neg_lo:[0,1] neg_hi:[0,1]
	v_mov_b32_e32 v37, v13
	v_pk_mul_f32 v[12:13], v[32:33], v[24:25]
	v_accvgpr_read_b32 v32, a42
	v_accvgpr_read_b32 v33, a43
	v_pk_fma_f32 v[16:17], v[32:33], v[24:25], v[12:13] op_sel:[0,0,1] op_sel_hi:[1,1,0]
	v_pk_fma_f32 v[12:13], v[32:33], v[24:25], v[12:13] op_sel:[0,0,1] op_sel_hi:[1,1,0] neg_lo:[0,0,1] neg_hi:[0,0,1]
	v_accvgpr_read_b32 v32, a44
	v_mov_b32_e32 v17, v13
	s_waitcnt lgkmcnt(0)
	v_pk_mul_f32 v[12:13], v[34:35], v[26:27]
	v_accvgpr_read_b32 v33, a45
	v_pk_fma_f32 v[24:25], v[32:33], v[26:27], v[12:13] op_sel:[0,0,1] op_sel_hi:[1,1,0]
	v_pk_fma_f32 v[12:13], v[32:33], v[26:27], v[12:13] op_sel:[0,0,1] op_sel_hi:[1,1,0] neg_lo:[0,0,1] neg_hi:[0,0,1]
	v_pk_add_f32 v[26:27], v[28:29], v[66:67] neg_lo:[0,1] neg_hi:[0,1]
	v_pk_add_f32 v[34:35], v[30:31], v[64:65] neg_lo:[0,1] neg_hi:[0,1]
	v_pk_mul_f32 v[32:33], v[26:27], s[2:3] op_sel_hi:[1,0]
	v_pk_mul_f32 v[38:39], v[34:35], s[6:7] op_sel_hi:[1,0]
	v_pk_add_f32 v[42:43], v[42:43], v[46:47]
	v_pk_add_f32 v[46:47], v[2:3], v[32:33] op_sel:[0,1] op_sel_hi:[1,0] neg_lo:[0,1] neg_hi:[0,1]
	v_pk_add_f32 v[2:3], v[2:3], v[32:33] op_sel:[0,1] op_sel_hi:[1,0]
	v_pk_add_f32 v[32:33], v[46:47], v[38:39] op_sel:[0,1] op_sel_hi:[1,0] neg_lo:[0,1] neg_hi:[0,1]
	v_pk_add_f32 v[46:47], v[28:29], v[66:67]
	v_pk_add_f32 v[28:29], v[30:31], v[28:29] neg_lo:[0,1] neg_hi:[0,1]
	v_pk_add_f32 v[30:31], v[64:65], v[66:67] neg_lo:[0,1] neg_hi:[0,1]
	v_pk_fma_f32 v[4:5], v[46:47], 0.5, v[4:5] op_sel_hi:[1,0,1] neg_lo:[1,0,0] neg_hi:[1,0,0]
	v_pk_add_f32 v[28:29], v[28:29], v[30:31]
	v_pk_mul_f32 v[30:31], v[34:35], s[2:3] op_sel_hi:[1,0]
	v_pk_mul_f32 v[26:27], v[26:27], s[6:7] op_sel_hi:[1,0]
	v_pk_add_f32 v[34:35], v[4:5], v[30:31] op_sel:[0,1] op_sel_hi:[1,0]
	v_pk_add_f32 v[4:5], v[4:5], v[30:31] op_sel:[0,1] op_sel_hi:[1,0] neg_lo:[0,1] neg_hi:[0,1]
	v_pk_add_f32 v[2:3], v[2:3], v[38:39] op_sel:[0,1] op_sel_hi:[1,0]
	v_pk_add_f32 v[4:5], v[4:5], v[26:27] op_sel:[0,1] op_sel_hi:[1,0]
	v_pk_add_f32 v[26:27], v[34:35], v[26:27] op_sel:[0,1] op_sel_hi:[1,0] neg_lo:[0,1] neg_hi:[0,1]
	v_mov_b32_e32 v31, v5
	v_mov_b32_e32 v30, v26
	;; [unrolled: 1-line block ×3, first 2 shown]
	v_pk_fma_f32 v[30:31], v[28:29], s[0:1], v[30:31] op_sel_hi:[1,0,1]
	v_pk_fma_f32 v[4:5], v[28:29], s[0:1], v[4:5] op_sel_hi:[1,0,1]
	v_pk_add_f32 v[26:27], v[62:63], v[56:57]
	v_pk_add_f32 v[28:29], v[60:61], v[58:59] neg_lo:[0,1] neg_hi:[0,1]
	v_mov_b32_e32 v38, v32
	v_mov_b32_e32 v39, v3
	;; [unrolled: 1-line block ×3, first 2 shown]
	v_pk_fma_f32 v[26:27], v[26:27], 0.5, v[6:7] op_sel_hi:[1,0,1] neg_lo:[1,0,0] neg_hi:[1,0,0]
	v_pk_mul_f32 v[32:33], v[28:29], s[2:3] op_sel_hi:[1,0]
	v_pk_add_f32 v[34:35], v[62:63], v[56:57] neg_lo:[0,1] neg_hi:[0,1]
	v_pk_add_f32 v[46:47], v[60:61], v[62:63] neg_lo:[0,1] neg_hi:[0,1]
	;; [unrolled: 1-line block ×3, first 2 shown]
	v_pk_fma_f32 v[38:39], v[42:43], s[0:1], v[38:39] op_sel_hi:[1,0,1]
	v_pk_fma_f32 v[2:3], v[42:43], s[0:1], v[2:3] op_sel_hi:[1,0,1]
	v_pk_mul_f32 v[42:43], v[34:35], s[6:7] op_sel_hi:[1,0]
	v_pk_add_f32 v[46:47], v[46:47], v[64:65]
	v_pk_add_f32 v[64:65], v[26:27], v[32:33] op_sel:[0,1] op_sel_hi:[1,0] neg_lo:[0,1] neg_hi:[0,1]
	v_pk_add_f32 v[26:27], v[26:27], v[32:33] op_sel:[0,1] op_sel_hi:[1,0]
	v_pk_add_f32 v[32:33], v[64:65], v[42:43] op_sel:[0,1] op_sel_hi:[1,0] neg_lo:[0,1] neg_hi:[0,1]
	v_pk_add_f32 v[26:27], v[26:27], v[42:43] op_sel:[0,1] op_sel_hi:[1,0]
	v_mov_b32_e32 v42, v32
	v_mov_b32_e32 v43, v27
	v_pk_fma_f32 v[42:43], v[46:47], s[0:1], v[42:43] op_sel_hi:[1,0,1]
	ds_write2_b64 v167, v[38:39], v[42:43] offset0:65 offset1:78
	v_pk_add_f32 v[38:39], v[60:61], v[58:59]
	v_pk_add_f32 v[42:43], v[56:57], v[58:59] neg_lo:[0,1] neg_hi:[0,1]
	v_pk_fma_f32 v[6:7], v[38:39], 0.5, v[6:7] op_sel_hi:[1,0,1] neg_lo:[1,0,0] neg_hi:[1,0,0]
	v_pk_add_f32 v[38:39], v[62:63], v[60:61] neg_lo:[0,1] neg_hi:[0,1]
	v_pk_mul_f32 v[34:35], v[34:35], s[2:3] op_sel_hi:[1,0]
	v_pk_add_f32 v[38:39], v[38:39], v[42:43]
	v_pk_mul_f32 v[28:29], v[28:29], s[6:7] op_sel_hi:[1,0]
	v_pk_add_f32 v[42:43], v[6:7], v[34:35] op_sel:[0,1] op_sel_hi:[1,0]
	v_pk_add_f32 v[6:7], v[6:7], v[34:35] op_sel:[0,1] op_sel_hi:[1,0] neg_lo:[0,1] neg_hi:[0,1]
	v_mov_b32_e32 v27, v33
	v_pk_add_f32 v[6:7], v[6:7], v[28:29] op_sel:[0,1] op_sel_hi:[1,0]
	v_pk_add_f32 v[28:29], v[42:43], v[28:29] op_sel:[0,1] op_sel_hi:[1,0] neg_lo:[0,1] neg_hi:[0,1]
	v_mov_b32_e32 v35, v7
	v_mov_b32_e32 v7, v29
	;; [unrolled: 1-line block ×3, first 2 shown]
	v_pk_fma_f32 v[6:7], v[38:39], s[0:1], v[6:7] op_sel_hi:[1,0,1]
	v_pk_fma_f32 v[34:35], v[38:39], s[0:1], v[34:35] op_sel_hi:[1,0,1]
	ds_write2_b64 v167, v[4:5], v[6:7] offset0:195 offset1:208
	v_pk_fma_f32 v[4:5], v[46:47], s[0:1], v[26:27] op_sel_hi:[1,0,1]
	v_add_u32_e32 v42, 0x800, v167
	ds_write2_b64 v167, v[30:31], v[34:35] offset0:130 offset1:143
	ds_write2_b64 v42, v[2:3], v[4:5] offset0:4 offset1:17
	;; [unrolled: 1-line block ×3, first 2 shown]
	v_pk_add_f32 v[2:3], v[54:55], v[18:19]
	v_pk_add_f32 v[4:5], v[52:53], v[48:49] neg_lo:[0,1] neg_hi:[0,1]
	v_pk_fma_f32 v[2:3], v[2:3], 0.5, v[8:9] op_sel_hi:[1,0,1] neg_lo:[1,0,0] neg_hi:[1,0,0]
	v_pk_mul_f32 v[6:7], v[4:5], s[2:3] op_sel_hi:[1,0]
	v_pk_add_f32 v[26:27], v[54:55], v[18:19] neg_lo:[0,1] neg_hi:[0,1]
	v_pk_add_f32 v[30:31], v[52:53], v[54:55] neg_lo:[0,1] neg_hi:[0,1]
	;; [unrolled: 1-line block ×3, first 2 shown]
	v_pk_mul_f32 v[28:29], v[26:27], s[6:7] op_sel_hi:[1,0]
	v_pk_add_f32 v[30:31], v[30:31], v[32:33]
	v_pk_add_f32 v[32:33], v[2:3], v[6:7] op_sel:[0,1] op_sel_hi:[1,0] neg_lo:[0,1] neg_hi:[0,1]
	v_pk_add_f32 v[2:3], v[2:3], v[6:7] op_sel:[0,1] op_sel_hi:[1,0]
	v_pk_add_f32 v[6:7], v[32:33], v[28:29] op_sel:[0,1] op_sel_hi:[1,0] neg_lo:[0,1] neg_hi:[0,1]
	v_pk_add_f32 v[32:33], v[52:53], v[48:49]
	v_pk_add_f32 v[18:19], v[18:19], v[48:49] neg_lo:[0,1] neg_hi:[0,1]
	v_pk_fma_f32 v[8:9], v[32:33], 0.5, v[8:9] op_sel_hi:[1,0,1] neg_lo:[1,0,0] neg_hi:[1,0,0]
	v_pk_add_f32 v[32:33], v[54:55], v[52:53] neg_lo:[0,1] neg_hi:[0,1]
	v_pk_mul_f32 v[26:27], v[26:27], s[2:3] op_sel_hi:[1,0]
	v_pk_add_f32 v[18:19], v[32:33], v[18:19]
	v_pk_mul_f32 v[4:5], v[4:5], s[6:7] op_sel_hi:[1,0]
	v_pk_add_f32 v[32:33], v[8:9], v[26:27] op_sel:[0,1] op_sel_hi:[1,0]
	v_pk_add_f32 v[8:9], v[8:9], v[26:27] op_sel:[0,1] op_sel_hi:[1,0] neg_lo:[0,1] neg_hi:[0,1]
	v_mov_b32_e32 v23, v15
	v_pk_add_f32 v[8:9], v[8:9], v[4:5] op_sel:[0,1] op_sel_hi:[1,0]
	v_pk_add_f32 v[4:5], v[32:33], v[4:5] op_sel:[0,1] op_sel_hi:[1,0] neg_lo:[0,1] neg_hi:[0,1]
	v_pk_add_f32 v[2:3], v[2:3], v[28:29] op_sel:[0,1] op_sel_hi:[1,0]
	v_mov_b32_e32 v27, v9
	v_mov_b32_e32 v9, v5
	;; [unrolled: 1-line block ×5, first 2 shown]
	v_pk_fma_f32 v[4:5], v[18:19], s[0:1], v[8:9] op_sel_hi:[1,0,1]
	v_mov_b32_e32 v3, v7
	v_pk_add_f32 v[6:7], v[44:45], v[20:21]
	v_pk_add_f32 v[8:9], v[70:71], v[22:23] neg_lo:[0,1] neg_hi:[0,1]
	v_pk_fma_f32 v[28:29], v[30:31], s[0:1], v[28:29] op_sel_hi:[1,0,1]
	v_pk_fma_f32 v[26:27], v[18:19], s[0:1], v[26:27] op_sel_hi:[1,0,1]
	;; [unrolled: 1-line block ×3, first 2 shown]
	v_pk_fma_f32 v[6:7], v[6:7], 0.5, v[10:11] op_sel_hi:[1,0,1] neg_lo:[1,0,0] neg_hi:[1,0,0]
	v_pk_mul_f32 v[18:19], v[8:9], s[2:3] op_sel_hi:[1,0]
	v_pk_add_f32 v[30:31], v[44:45], v[20:21] neg_lo:[0,1] neg_hi:[0,1]
	v_pk_add_f32 v[34:35], v[70:71], v[44:45] neg_lo:[0,1] neg_hi:[0,1]
	;; [unrolled: 1-line block ×3, first 2 shown]
	v_pk_mul_f32 v[32:33], v[30:31], s[6:7] op_sel_hi:[1,0]
	v_pk_add_f32 v[34:35], v[34:35], v[38:39]
	v_pk_add_f32 v[38:39], v[6:7], v[18:19] op_sel:[0,1] op_sel_hi:[1,0] neg_lo:[0,1] neg_hi:[0,1]
	v_pk_add_f32 v[6:7], v[6:7], v[18:19] op_sel:[0,1] op_sel_hi:[1,0]
	v_pk_add_f32 v[18:19], v[38:39], v[32:33] op_sel:[0,1] op_sel_hi:[1,0] neg_lo:[0,1] neg_hi:[0,1]
	v_pk_add_f32 v[6:7], v[6:7], v[32:33] op_sel:[0,1] op_sel_hi:[1,0]
	v_pk_add_f32 v[14:15], v[10:11], v[70:71]
	v_mov_b32_e32 v32, v18
	v_mov_b32_e32 v33, v7
	v_pk_add_f32 v[14:15], v[14:15], v[44:45]
	v_pk_fma_f32 v[32:33], v[34:35], s[0:1], v[32:33] op_sel_hi:[1,0,1]
	v_pk_add_f32 v[14:15], v[14:15], v[20:21]
	ds_write2_b64 v167, v[28:29], v[32:33] offset0:91 offset1:104
	v_pk_add_f32 v[28:29], v[70:71], v[22:23]
	v_pk_add_f32 v[14:15], v[14:15], v[22:23]
	v_pk_fma_f32 v[10:11], v[28:29], 0.5, v[10:11] op_sel_hi:[1,0,1] neg_lo:[1,0,0] neg_hi:[1,0,0]
	v_pk_add_f32 v[28:29], v[44:45], v[70:71] neg_lo:[0,1] neg_hi:[0,1]
	v_pk_add_f32 v[20:21], v[20:21], v[22:23] neg_lo:[0,1] neg_hi:[0,1]
	v_pk_mul_f32 v[22:23], v[30:31], s[2:3] op_sel_hi:[1,0]
	v_pk_add_f32 v[20:21], v[28:29], v[20:21]
	v_pk_mul_f32 v[8:9], v[8:9], s[6:7] op_sel_hi:[1,0]
	v_pk_add_f32 v[28:29], v[10:11], v[22:23] op_sel:[0,1] op_sel_hi:[1,0]
	v_pk_add_f32 v[10:11], v[10:11], v[22:23] op_sel:[0,1] op_sel_hi:[1,0] neg_lo:[0,1] neg_hi:[0,1]
	v_mov_b32_e32 v25, v13
	v_pk_add_f32 v[10:11], v[10:11], v[8:9] op_sel:[0,1] op_sel_hi:[1,0]
	v_pk_add_f32 v[8:9], v[28:29], v[8:9] op_sel:[0,1] op_sel_hi:[1,0] neg_lo:[0,1] neg_hi:[0,1]
	v_pk_add_f32 v[12:13], v[0:1], v[40:41]
	v_mov_b32_e32 v23, v11
	v_mov_b32_e32 v11, v9
	v_pk_add_f32 v[12:13], v[12:13], v[36:37]
	v_mov_b32_e32 v22, v8
	v_pk_fma_f32 v[8:9], v[20:21], s[0:1], v[10:11] op_sel_hi:[1,0,1]
	v_mov_b32_e32 v7, v19
	v_pk_add_f32 v[12:13], v[12:13], v[16:17]
	v_pk_fma_f32 v[22:23], v[20:21], s[0:1], v[22:23] op_sel_hi:[1,0,1]
	ds_write2_b64 v167, v[4:5], v[8:9] offset0:221 offset1:234
	v_pk_fma_f32 v[4:5], v[34:35], s[0:1], v[6:7] op_sel_hi:[1,0,1]
	v_pk_add_f32 v[12:13], v[12:13], v[24:25]
	ds_write2_b64 v167, v[26:27], v[22:23] offset0:156 offset1:169
	ds_write2_b64 v42, v[2:3], v[4:5] offset0:30 offset1:43
	;; [unrolled: 1-line block ×3, first 2 shown]
	v_pk_add_f32 v[2:3], v[36:37], v[16:17]
	v_pk_add_f32 v[4:5], v[40:41], v[24:25] neg_lo:[0,1] neg_hi:[0,1]
	v_pk_fma_f32 v[2:3], v[2:3], 0.5, v[0:1] op_sel_hi:[1,0,1] neg_lo:[1,0,0] neg_hi:[1,0,0]
	v_pk_mul_f32 v[6:7], v[4:5], s[2:3] op_sel_hi:[1,0]
	v_pk_add_f32 v[8:9], v[36:37], v[16:17] neg_lo:[0,1] neg_hi:[0,1]
	v_pk_add_f32 v[12:13], v[40:41], v[36:37] neg_lo:[0,1] neg_hi:[0,1]
	;; [unrolled: 1-line block ×3, first 2 shown]
	v_pk_mul_f32 v[10:11], v[8:9], s[6:7] op_sel_hi:[1,0]
	v_pk_add_f32 v[12:13], v[12:13], v[14:15]
	v_pk_add_f32 v[14:15], v[2:3], v[6:7] op_sel:[0,1] op_sel_hi:[1,0] neg_lo:[0,1] neg_hi:[0,1]
	v_pk_add_f32 v[2:3], v[2:3], v[6:7] op_sel:[0,1] op_sel_hi:[1,0]
	v_pk_add_f32 v[6:7], v[14:15], v[10:11] op_sel:[0,1] op_sel_hi:[1,0] neg_lo:[0,1] neg_hi:[0,1]
	v_pk_add_f32 v[14:15], v[40:41], v[24:25]
	v_pk_add_f32 v[16:17], v[16:17], v[24:25] neg_lo:[0,1] neg_hi:[0,1]
	v_pk_fma_f32 v[0:1], v[14:15], 0.5, v[0:1] op_sel_hi:[1,0,1] neg_lo:[1,0,0] neg_hi:[1,0,0]
	v_pk_add_f32 v[14:15], v[36:37], v[40:41] neg_lo:[0,1] neg_hi:[0,1]
	v_pk_mul_f32 v[8:9], v[8:9], s[2:3] op_sel_hi:[1,0]
	v_pk_add_f32 v[14:15], v[14:15], v[16:17]
	v_pk_mul_f32 v[4:5], v[4:5], s[6:7] op_sel_hi:[1,0]
	v_pk_add_f32 v[16:17], v[0:1], v[8:9] op_sel:[0,1] op_sel_hi:[1,0]
	v_pk_add_f32 v[0:1], v[0:1], v[8:9] op_sel:[0,1] op_sel_hi:[1,0] neg_lo:[0,1] neg_hi:[0,1]
	v_pk_add_f32 v[2:3], v[2:3], v[10:11] op_sel:[0,1] op_sel_hi:[1,0]
	v_pk_add_f32 v[0:1], v[0:1], v[4:5] op_sel:[0,1] op_sel_hi:[1,0]
	v_pk_add_f32 v[4:5], v[16:17], v[4:5] op_sel:[0,1] op_sel_hi:[1,0] neg_lo:[0,1] neg_hi:[0,1]
	v_mov_b32_e32 v10, v6
	v_mov_b32_e32 v11, v3
	;; [unrolled: 1-line block ×6, first 2 shown]
	v_pk_fma_f32 v[10:11], v[12:13], s[0:1], v[10:11] op_sel_hi:[1,0,1]
	v_pk_fma_f32 v[8:9], v[14:15], s[0:1], v[8:9] op_sel_hi:[1,0,1]
	;; [unrolled: 1-line block ×4, first 2 shown]
	v_add_u32_e32 v4, 0x400, v142
	ds_write2_b64 v142, v[10:11], v[8:9] offset0:65 offset1:130
	ds_write2_b64 v4, v[0:1], v[2:3] offset0:67 offset1:132
	s_waitcnt lgkmcnt(0)
	; wave barrier
	s_waitcnt lgkmcnt(0)
	ds_read2_b64 v[0:3], v220 offset1:25
	v_mov_b32_e32 v4, v79
	v_accvgpr_read_b32 v6, a28
	v_mad_u64_u32 v[4:5], s[0:1], s7, v140, v[4:5]
	v_accvgpr_read_b32 v7, a29
	v_mov_b32_e32 v79, v4
	s_waitcnt lgkmcnt(0)
	v_mul_f32_e32 v4, v7, v1
	v_fmac_f32_e32 v4, v6, v0
	v_mul_f32_e32 v0, v7, v0
	s_mov_b32 s0, 0x7f9b2ce6
	v_fma_f32 v0, v6, v1, -v0
	v_cvt_f64_f32_e32 v[4:5], v4
	s_mov_b32 s1, 0x3f6934c6
	v_cvt_f64_f32_e32 v[0:1], v0
	v_mul_f64 v[4:5], v[4:5], s[0:1]
	v_mul_f64 v[0:1], v[0:1], s[0:1]
	v_mad_u64_u32 v[6:7], s[2:3], s4, v248, 0
	v_cvt_f32_f64_e32 v4, v[4:5]
	v_cvt_f32_f64_e32 v5, v[0:1]
	v_mov_b32_e32 v0, v7
	v_mad_u64_u32 v[0:1], s[2:3], s5, v248, v[0:1]
	v_mov_b32_e32 v7, v0
	v_lshl_add_u64 v[0:1], v[78:79], 3, v[76:77]
	v_accvgpr_read_b32 v10, a26
	v_lshl_add_u64 v[6:7], v[6:7], 3, v[0:1]
	v_accvgpr_read_b32 v11, a27
	global_store_dwordx2 v[6:7], v[4:5], off
	v_mul_f32_e32 v4, v11, v3
	v_fmac_f32_e32 v4, v10, v2
	v_mul_f32_e32 v2, v11, v2
	v_fma_f32 v2, v10, v3, -v2
	v_cvt_f64_f32_e32 v[4:5], v4
	v_cvt_f64_f32_e32 v[2:3], v2
	v_mul_f64 v[4:5], v[4:5], s[0:1]
	v_mul_f64 v[2:3], v[2:3], s[0:1]
	v_cvt_f32_f64_e32 v8, v[4:5]
	v_cvt_f32_f64_e32 v9, v[2:3]
	ds_read2_b64 v[2:5], v220 offset0:50 offset1:75
	s_mul_i32 s2, s5, 25
	s_mul_hi_u32 s3, s4, 25
	s_add_i32 s3, s3, s2
	s_mul_i32 s2, s4, 25
	s_lshl_b64 s[2:3], s[2:3], 3
	v_accvgpr_read_b32 v10, a24
	v_lshl_add_u64 v[6:7], v[6:7], 0, s[2:3]
	v_accvgpr_read_b32 v11, a25
	global_store_dwordx2 v[6:7], v[8:9], off
	s_waitcnt lgkmcnt(0)
	v_mul_f32_e32 v8, v11, v3
	v_fmac_f32_e32 v8, v10, v2
	v_mul_f32_e32 v2, v11, v2
	v_fma_f32 v2, v10, v3, -v2
	v_cvt_f64_f32_e32 v[8:9], v8
	v_cvt_f64_f32_e32 v[2:3], v2
	v_accvgpr_read_b32 v10, a22
	v_mul_f64 v[8:9], v[8:9], s[0:1]
	v_mul_f64 v[2:3], v[2:3], s[0:1]
	v_accvgpr_read_b32 v11, a23
	v_cvt_f32_f64_e32 v8, v[8:9]
	v_cvt_f32_f64_e32 v9, v[2:3]
	v_mul_f32_e32 v2, v11, v5
	v_fmac_f32_e32 v2, v10, v4
	v_cvt_f64_f32_e32 v[2:3], v2
	v_lshl_add_u64 v[6:7], v[6:7], 0, s[2:3]
	v_mul_f64 v[2:3], v[2:3], s[0:1]
	global_store_dwordx2 v[6:7], v[8:9], off
	v_cvt_f32_f64_e32 v8, v[2:3]
	v_mul_f32_e32 v2, v11, v4
	v_fma_f32 v2, v10, v5, -v2
	v_cvt_f64_f32_e32 v[10:11], v2
	ds_read2_b64 v[2:5], v220 offset0:100 offset1:125
	v_mul_f64 v[10:11], v[10:11], s[0:1]
	v_cvt_f32_f64_e32 v9, v[10:11]
	v_accvgpr_read_b32 v10, a18
	v_lshl_add_u64 v[6:7], v[6:7], 0, s[2:3]
	v_accvgpr_read_b32 v11, a19
	global_store_dwordx2 v[6:7], v[8:9], off
	s_waitcnt lgkmcnt(0)
	v_mul_f32_e32 v8, v11, v3
	v_fmac_f32_e32 v8, v10, v2
	v_mul_f32_e32 v2, v11, v2
	v_fma_f32 v2, v10, v3, -v2
	v_cvt_f64_f32_e32 v[8:9], v8
	v_cvt_f64_f32_e32 v[2:3], v2
	v_accvgpr_read_b32 v10, a16
	v_mul_f64 v[8:9], v[8:9], s[0:1]
	v_mul_f64 v[2:3], v[2:3], s[0:1]
	v_accvgpr_read_b32 v11, a17
	v_cvt_f32_f64_e32 v8, v[8:9]
	v_cvt_f32_f64_e32 v9, v[2:3]
	v_mul_f32_e32 v2, v11, v5
	v_fmac_f32_e32 v2, v10, v4
	v_cvt_f64_f32_e32 v[2:3], v2
	v_lshl_add_u64 v[6:7], v[6:7], 0, s[2:3]
	v_mul_f64 v[2:3], v[2:3], s[0:1]
	global_store_dwordx2 v[6:7], v[8:9], off
	v_cvt_f32_f64_e32 v8, v[2:3]
	v_mul_f32_e32 v2, v11, v4
	v_fma_f32 v2, v10, v5, -v2
	v_cvt_f64_f32_e32 v[10:11], v2
	ds_read2_b64 v[2:5], v220 offset0:150 offset1:175
	v_mul_f64 v[10:11], v[10:11], s[0:1]
	v_cvt_f32_f64_e32 v9, v[10:11]
	;; [unrolled: 30-line block ×3, first 2 shown]
	v_accvgpr_read_b32 v10, a10
	v_lshl_add_u64 v[6:7], v[6:7], 0, s[2:3]
	v_accvgpr_read_b32 v11, a11
	global_store_dwordx2 v[6:7], v[8:9], off
	s_waitcnt lgkmcnt(0)
	v_mul_f32_e32 v8, v11, v3
	v_fmac_f32_e32 v8, v10, v2
	v_mul_f32_e32 v2, v11, v2
	v_fma_f32 v2, v10, v3, -v2
	v_cvt_f64_f32_e32 v[8:9], v8
	v_cvt_f64_f32_e32 v[2:3], v2
	v_mul_f64 v[8:9], v[8:9], s[0:1]
	v_mul_f64 v[2:3], v[2:3], s[0:1]
	v_cvt_f32_f64_e32 v8, v[8:9]
	v_cvt_f32_f64_e32 v9, v[2:3]
	v_lshl_add_u64 v[2:3], v[6:7], 0, s[2:3]
	global_store_dwordx2 v[2:3], v[8:9], off
	v_accvgpr_read_b32 v8, a8
	v_accvgpr_read_b32 v9, a9
	v_mul_f32_e32 v6, v9, v5
	v_fmac_f32_e32 v6, v8, v4
	v_mul_f32_e32 v4, v9, v4
	v_cvt_f64_f32_e32 v[6:7], v6
	v_fma_f32 v4, v8, v5, -v4
	v_mul_f64 v[6:7], v[6:7], s[0:1]
	v_cvt_f64_f32_e32 v[12:13], v4
	v_add_u32_e32 v4, 0x400, v220
	v_cvt_f32_f64_e32 v10, v[6:7]
	ds_read2_b64 v[6:9], v4 offset0:122 offset1:147
	v_mul_f64 v[12:13], v[12:13], s[0:1]
	v_cvt_f32_f64_e32 v11, v[12:13]
	v_accvgpr_read_b32 v13, a7
	v_accvgpr_read_b32 v12, a6
	s_waitcnt lgkmcnt(0)
	v_mul_f32_e32 v5, v13, v7
	v_lshl_add_u64 v[2:3], v[2:3], 0, s[2:3]
	v_fmac_f32_e32 v5, v12, v6
	global_store_dwordx2 v[2:3], v[10:11], off
	v_cvt_f64_f32_e32 v[10:11], v5
	v_mul_f32_e32 v5, v13, v6
	v_fma_f32 v5, v12, v7, -v5
	v_cvt_f64_f32_e32 v[6:7], v5
	v_mul_f64 v[10:11], v[10:11], s[0:1]
	v_mul_f64 v[6:7], v[6:7], s[0:1]
	v_cvt_f32_f64_e32 v10, v[10:11]
	v_cvt_f32_f64_e32 v11, v[6:7]
	v_lshl_add_u64 v[2:3], v[2:3], 0, s[2:3]
	global_store_dwordx2 v[2:3], v[10:11], off
	v_accvgpr_read_b32 v11, a5
	v_accvgpr_read_b32 v10, a4
	v_mul_f32_e32 v5, v11, v9
	v_fmac_f32_e32 v5, v10, v8
	v_cvt_f64_f32_e32 v[6:7], v5
	v_mul_f32_e32 v5, v11, v8
	v_fma_f32 v5, v10, v9, -v5
	ds_read_b64 v[10:11], v220 offset:2400
	v_cvt_f64_f32_e32 v[8:9], v5
	v_mul_f64 v[6:7], v[6:7], s[0:1]
	v_mul_f64 v[8:9], v[8:9], s[0:1]
	v_cvt_f32_f64_e32 v6, v[6:7]
	v_cvt_f32_f64_e32 v7, v[8:9]
	v_accvgpr_read_b32 v9, a3
	v_accvgpr_read_b32 v8, a2
	s_waitcnt lgkmcnt(0)
	v_mul_f32_e32 v5, v9, v11
	v_lshl_add_u64 v[2:3], v[2:3], 0, s[2:3]
	v_fmac_f32_e32 v5, v8, v10
	global_store_dwordx2 v[2:3], v[6:7], off
	v_cvt_f64_f32_e32 v[6:7], v5
	v_mul_f32_e32 v5, v9, v10
	v_fma_f32 v5, v8, v11, -v5
	v_cvt_f64_f32_e32 v[8:9], v5
	v_mul_f64 v[6:7], v[6:7], s[0:1]
	v_mul_f64 v[8:9], v[8:9], s[0:1]
	v_cvt_f32_f64_e32 v6, v[6:7]
	v_cvt_f32_f64_e32 v7, v[8:9]
	v_lshl_add_u64 v[2:3], v[2:3], 0, s[2:3]
	global_store_dwordx2 v[2:3], v[6:7], off
	s_and_b64 exec, exec, vcc
	s_cbranch_execz .LBB0_15
; %bb.14:
	v_accvgpr_read_b32 v15, a1
	v_accvgpr_read_b32 v14, a0
	global_load_dwordx2 v[6:7], v[14:15], off offset:104
	ds_read_b64 v[8:9], v167 offset:104
	v_mov_b32_e32 v5, 0xfffff708
	v_mad_u64_u32 v[2:3], s[6:7], s4, v5, v[2:3]
	s_mul_i32 s8, s5, 0xfffff708
	s_sub_i32 s6, s8, s4
	v_add_u32_e32 v3, s6, v3
	v_or_b32_e32 v13, 0x120, v248
	s_waitcnt vmcnt(0) lgkmcnt(0)
	v_mul_f32_e32 v5, v9, v7
	v_mul_f32_e32 v7, v8, v7
	v_fmac_f32_e32 v5, v8, v6
	v_fma_f32 v8, v6, v9, -v7
	v_cvt_f64_f32_e32 v[6:7], v5
	v_cvt_f64_f32_e32 v[8:9], v8
	v_mul_f64 v[6:7], v[6:7], s[0:1]
	v_mul_f64 v[8:9], v[8:9], s[0:1]
	v_cvt_f32_f64_e32 v6, v[6:7]
	v_cvt_f32_f64_e32 v7, v[8:9]
	global_store_dwordx2 v[2:3], v[6:7], off
	global_load_dwordx2 v[10:11], v[14:15], off offset:304
	ds_read2_b64 v[6:9], v220 offset0:38 offset1:63
	v_lshl_add_u64 v[2:3], v[2:3], 0, s[2:3]
	s_waitcnt vmcnt(0) lgkmcnt(0)
	v_mul_f32_e32 v5, v7, v11
	v_mul_f32_e32 v11, v6, v11
	v_fmac_f32_e32 v5, v6, v10
	v_fma_f32 v10, v10, v7, -v11
	v_cvt_f64_f32_e32 v[6:7], v5
	v_cvt_f64_f32_e32 v[10:11], v10
	v_mul_f64 v[6:7], v[6:7], s[0:1]
	v_mul_f64 v[10:11], v[10:11], s[0:1]
	v_cvt_f32_f64_e32 v6, v[6:7]
	v_cvt_f32_f64_e32 v7, v[10:11]
	global_store_dwordx2 v[2:3], v[6:7], off
	global_load_dwordx2 v[6:7], v[14:15], off offset:504
	v_lshl_add_u64 v[2:3], v[2:3], 0, s[2:3]
	s_waitcnt vmcnt(0)
	v_mul_f32_e32 v5, v9, v7
	v_mul_f32_e32 v7, v8, v7
	v_fmac_f32_e32 v5, v8, v6
	v_fma_f32 v8, v6, v9, -v7
	v_cvt_f64_f32_e32 v[6:7], v5
	v_cvt_f64_f32_e32 v[8:9], v8
	v_mul_f64 v[6:7], v[6:7], s[0:1]
	v_mul_f64 v[8:9], v[8:9], s[0:1]
	v_cvt_f32_f64_e32 v6, v[6:7]
	v_cvt_f32_f64_e32 v7, v[8:9]
	global_store_dwordx2 v[2:3], v[6:7], off
	global_load_dwordx2 v[10:11], v[14:15], off offset:704
	ds_read2_b64 v[6:9], v220 offset0:88 offset1:113
	v_lshl_add_u64 v[2:3], v[2:3], 0, s[2:3]
	s_waitcnt vmcnt(0) lgkmcnt(0)
	v_mul_f32_e32 v5, v7, v11
	v_mul_f32_e32 v11, v6, v11
	v_fmac_f32_e32 v5, v6, v10
	v_fma_f32 v10, v10, v7, -v11
	v_cvt_f64_f32_e32 v[6:7], v5
	v_cvt_f64_f32_e32 v[10:11], v10
	v_mul_f64 v[6:7], v[6:7], s[0:1]
	v_mul_f64 v[10:11], v[10:11], s[0:1]
	v_cvt_f32_f64_e32 v6, v[6:7]
	v_cvt_f32_f64_e32 v7, v[10:11]
	global_store_dwordx2 v[2:3], v[6:7], off
	global_load_dwordx2 v[6:7], v[14:15], off offset:904
	v_lshl_add_u64 v[2:3], v[2:3], 0, s[2:3]
	s_waitcnt vmcnt(0)
	;; [unrolled: 29-line block ×4, first 2 shown]
	v_mul_f32_e32 v2, v9, v7
	v_mul_f32_e32 v3, v8, v7
	v_fmac_f32_e32 v2, v8, v6
	v_fma_f32 v5, v6, v9, -v3
	v_cvt_f64_f32_e32 v[2:3], v2
	v_cvt_f64_f32_e32 v[6:7], v5
	v_mul_f64 v[2:3], v[2:3], s[0:1]
	v_mul_f64 v[6:7], v[6:7], s[0:1]
	v_cvt_f32_f64_e32 v2, v[2:3]
	v_cvt_f32_f64_e32 v3, v[6:7]
	global_store_dwordx2 v[10:11], v[2:3], off
	global_load_dwordx2 v[6:7], v[14:15], off offset:1904
	ds_read2_b64 v[2:5], v4 offset0:110 offset1:135
	v_lshl_add_u64 v[8:9], v[10:11], 0, s[2:3]
	s_waitcnt vmcnt(0) lgkmcnt(0)
	v_mul_f32_e32 v10, v3, v7
	v_mul_f32_e32 v7, v2, v7
	v_fmac_f32_e32 v10, v2, v6
	v_fma_f32 v6, v6, v3, -v7
	v_cvt_f64_f32_e32 v[2:3], v10
	v_cvt_f64_f32_e32 v[6:7], v6
	v_mul_f64 v[2:3], v[2:3], s[0:1]
	v_mul_f64 v[6:7], v[6:7], s[0:1]
	v_cvt_f32_f64_e32 v2, v[2:3]
	v_cvt_f32_f64_e32 v3, v[6:7]
	global_store_dwordx2 v[8:9], v[2:3], off
	global_load_dwordx2 v[2:3], v[14:15], off offset:2104
	v_lshl_add_u64 v[6:7], v[8:9], 0, s[2:3]
	v_mad_u64_u32 v[10:11], s[2:3], s4, v13, 0
	v_mov_b32_e32 v12, v11
	v_mad_u64_u32 v[12:13], s[2:3], s5, v13, v[12:13]
	v_mov_b32_e32 v11, v12
	v_lshl_add_u64 v[0:1], v[10:11], 3, v[0:1]
	s_mulk_i32 s5, 0x190
	s_waitcnt vmcnt(0)
	v_mul_f32_e32 v8, v5, v3
	v_mul_f32_e32 v3, v4, v3
	v_fmac_f32_e32 v8, v4, v2
	v_fma_f32 v4, v2, v5, -v3
	v_cvt_f64_f32_e32 v[2:3], v8
	v_cvt_f64_f32_e32 v[4:5], v4
	v_mul_f64 v[2:3], v[2:3], s[0:1]
	v_mul_f64 v[4:5], v[4:5], s[0:1]
	v_cvt_f32_f64_e32 v2, v[2:3]
	v_cvt_f32_f64_e32 v3, v[4:5]
	global_store_dwordx2 v[6:7], v[2:3], off
	global_load_dwordx2 v[8:9], v[14:15], off offset:2304
	ds_read2_b64 v[2:5], v80 offset0:32 offset1:57
	s_waitcnt vmcnt(0) lgkmcnt(0)
	v_mul_f32_e32 v10, v3, v9
	v_mul_f32_e32 v9, v2, v9
	v_fmac_f32_e32 v10, v2, v8
	v_fma_f32 v8, v8, v3, -v9
	v_cvt_f64_f32_e32 v[2:3], v10
	v_cvt_f64_f32_e32 v[8:9], v8
	v_mul_f64 v[2:3], v[2:3], s[0:1]
	v_mul_f64 v[8:9], v[8:9], s[0:1]
	v_cvt_f32_f64_e32 v2, v[2:3]
	v_cvt_f32_f64_e32 v3, v[8:9]
	global_store_dwordx2 v[0:1], v[2:3], off
	global_load_dwordx2 v[0:1], v[14:15], off offset:2504
	v_mov_b32_e32 v2, 0x190
	v_mad_u64_u32 v[2:3], s[2:3], s4, v2, v[6:7]
	v_add_u32_e32 v3, s5, v3
	s_waitcnt vmcnt(0)
	v_mul_f32_e32 v6, v5, v1
	v_mul_f32_e32 v1, v4, v1
	v_fmac_f32_e32 v6, v4, v0
	v_fma_f32 v4, v0, v5, -v1
	v_cvt_f64_f32_e32 v[0:1], v6
	v_cvt_f64_f32_e32 v[4:5], v4
	v_mul_f64 v[0:1], v[0:1], s[0:1]
	v_mul_f64 v[4:5], v[4:5], s[0:1]
	v_cvt_f32_f64_e32 v0, v[0:1]
	v_cvt_f32_f64_e32 v1, v[4:5]
	global_store_dwordx2 v[2:3], v[0:1], off
.LBB0_15:
	s_endpgm
	.section	.rodata,"a",@progbits
	.p2align	6, 0x0
	.amdhsa_kernel bluestein_single_fwd_len325_dim1_sp_op_CI_CI
		.amdhsa_group_segment_fixed_size 10400
		.amdhsa_private_segment_fixed_size 0
		.amdhsa_kernarg_size 104
		.amdhsa_user_sgpr_count 2
		.amdhsa_user_sgpr_dispatch_ptr 0
		.amdhsa_user_sgpr_queue_ptr 0
		.amdhsa_user_sgpr_kernarg_segment_ptr 1
		.amdhsa_user_sgpr_dispatch_id 0
		.amdhsa_user_sgpr_kernarg_preload_length 0
		.amdhsa_user_sgpr_kernarg_preload_offset 0
		.amdhsa_user_sgpr_private_segment_size 0
		.amdhsa_uses_dynamic_stack 0
		.amdhsa_enable_private_segment 0
		.amdhsa_system_sgpr_workgroup_id_x 1
		.amdhsa_system_sgpr_workgroup_id_y 0
		.amdhsa_system_sgpr_workgroup_id_z 0
		.amdhsa_system_sgpr_workgroup_info 0
		.amdhsa_system_vgpr_workitem_id 0
		.amdhsa_next_free_vgpr 324
		.amdhsa_next_free_sgpr 54
		.amdhsa_accum_offset 256
		.amdhsa_reserve_vcc 1
		.amdhsa_float_round_mode_32 0
		.amdhsa_float_round_mode_16_64 0
		.amdhsa_float_denorm_mode_32 3
		.amdhsa_float_denorm_mode_16_64 3
		.amdhsa_dx10_clamp 1
		.amdhsa_ieee_mode 1
		.amdhsa_fp16_overflow 0
		.amdhsa_tg_split 0
		.amdhsa_exception_fp_ieee_invalid_op 0
		.amdhsa_exception_fp_denorm_src 0
		.amdhsa_exception_fp_ieee_div_zero 0
		.amdhsa_exception_fp_ieee_overflow 0
		.amdhsa_exception_fp_ieee_underflow 0
		.amdhsa_exception_fp_ieee_inexact 0
		.amdhsa_exception_int_div_zero 0
	.end_amdhsa_kernel
	.text
.Lfunc_end0:
	.size	bluestein_single_fwd_len325_dim1_sp_op_CI_CI, .Lfunc_end0-bluestein_single_fwd_len325_dim1_sp_op_CI_CI
                                        ; -- End function
	.section	.AMDGPU.csdata,"",@progbits
; Kernel info:
; codeLenInByte = 25420
; NumSgprs: 60
; NumVgprs: 256
; NumAgprs: 68
; TotalNumVgprs: 324
; ScratchSize: 0
; MemoryBound: 0
; FloatMode: 240
; IeeeMode: 1
; LDSByteSize: 10400 bytes/workgroup (compile time only)
; SGPRBlocks: 7
; VGPRBlocks: 40
; NumSGPRsForWavesPerEU: 60
; NumVGPRsForWavesPerEU: 324
; AccumOffset: 256
; Occupancy: 1
; WaveLimiterHint : 1
; COMPUTE_PGM_RSRC2:SCRATCH_EN: 0
; COMPUTE_PGM_RSRC2:USER_SGPR: 2
; COMPUTE_PGM_RSRC2:TRAP_HANDLER: 0
; COMPUTE_PGM_RSRC2:TGID_X_EN: 1
; COMPUTE_PGM_RSRC2:TGID_Y_EN: 0
; COMPUTE_PGM_RSRC2:TGID_Z_EN: 0
; COMPUTE_PGM_RSRC2:TIDIG_COMP_CNT: 0
; COMPUTE_PGM_RSRC3_GFX90A:ACCUM_OFFSET: 63
; COMPUTE_PGM_RSRC3_GFX90A:TG_SPLIT: 0
	.text
	.p2alignl 6, 3212836864
	.fill 256, 4, 3212836864
	.type	__hip_cuid_a8549c78acf74441,@object ; @__hip_cuid_a8549c78acf74441
	.section	.bss,"aw",@nobits
	.globl	__hip_cuid_a8549c78acf74441
__hip_cuid_a8549c78acf74441:
	.byte	0                               ; 0x0
	.size	__hip_cuid_a8549c78acf74441, 1

	.ident	"AMD clang version 19.0.0git (https://github.com/RadeonOpenCompute/llvm-project roc-6.4.0 25133 c7fe45cf4b819c5991fe208aaa96edf142730f1d)"
	.section	".note.GNU-stack","",@progbits
	.addrsig
	.addrsig_sym __hip_cuid_a8549c78acf74441
	.amdgpu_metadata
---
amdhsa.kernels:
  - .agpr_count:     68
    .args:
      - .actual_access:  read_only
        .address_space:  global
        .offset:         0
        .size:           8
        .value_kind:     global_buffer
      - .actual_access:  read_only
        .address_space:  global
        .offset:         8
        .size:           8
        .value_kind:     global_buffer
      - .actual_access:  read_only
        .address_space:  global
        .offset:         16
        .size:           8
        .value_kind:     global_buffer
      - .actual_access:  read_only
        .address_space:  global
        .offset:         24
        .size:           8
        .value_kind:     global_buffer
      - .actual_access:  read_only
        .address_space:  global
        .offset:         32
        .size:           8
        .value_kind:     global_buffer
      - .offset:         40
        .size:           8
        .value_kind:     by_value
      - .address_space:  global
        .offset:         48
        .size:           8
        .value_kind:     global_buffer
      - .address_space:  global
        .offset:         56
        .size:           8
        .value_kind:     global_buffer
      - .address_space:  global
        .offset:         64
        .size:           8
        .value_kind:     global_buffer
      - .address_space:  global
        .offset:         72
        .size:           8
        .value_kind:     global_buffer
      - .offset:         80
        .size:           4
        .value_kind:     by_value
      - .address_space:  global
        .offset:         88
        .size:           8
        .value_kind:     global_buffer
      - .address_space:  global
        .offset:         96
        .size:           8
        .value_kind:     global_buffer
    .group_segment_fixed_size: 10400
    .kernarg_segment_align: 8
    .kernarg_segment_size: 104
    .language:       OpenCL C
    .language_version:
      - 2
      - 0
    .max_flat_workgroup_size: 52
    .name:           bluestein_single_fwd_len325_dim1_sp_op_CI_CI
    .private_segment_fixed_size: 0
    .sgpr_count:     60
    .sgpr_spill_count: 0
    .symbol:         bluestein_single_fwd_len325_dim1_sp_op_CI_CI.kd
    .uniform_work_group_size: 1
    .uses_dynamic_stack: false
    .vgpr_count:     324
    .vgpr_spill_count: 0
    .wavefront_size: 64
amdhsa.target:   amdgcn-amd-amdhsa--gfx950
amdhsa.version:
  - 1
  - 2
...

	.end_amdgpu_metadata
